;; amdgpu-corpus repo=ROCm/rocFFT kind=compiled arch=gfx906 opt=O3
	.text
	.amdgcn_target "amdgcn-amd-amdhsa--gfx906"
	.amdhsa_code_object_version 6
	.protected	bluestein_single_fwd_len189_dim1_half_op_CI_CI ; -- Begin function bluestein_single_fwd_len189_dim1_half_op_CI_CI
	.globl	bluestein_single_fwd_len189_dim1_half_op_CI_CI
	.p2align	8
	.type	bluestein_single_fwd_len189_dim1_half_op_CI_CI,@function
bluestein_single_fwd_len189_dim1_half_op_CI_CI: ; @bluestein_single_fwd_len189_dim1_half_op_CI_CI
; %bb.0:
	v_mul_u32_u24_e32 v1, 0xc31, v0
	s_load_dwordx4 s[8:11], s[4:5], 0x28
	v_lshrrev_b32_e32 v1, 16, v1
	v_mad_u64_u32 v[2:3], s[0:1], s6, 3, v[1:2]
	v_mov_b32_e32 v3, 0
	s_waitcnt lgkmcnt(0)
	v_cmp_gt_u64_e32 vcc, s[8:9], v[2:3]
	s_and_saveexec_b64 s[0:1], vcc
	s_cbranch_execz .LBB0_15
; %bb.1:
	s_load_dwordx4 s[0:3], s[4:5], 0x18
	v_mul_lo_u16_e32 v1, 21, v1
	v_sub_u16_e32 v38, v0, v1
	v_lshlrev_b32_e32 v25, 2, v38
	v_or_b32_e32 v32, 48, v38
	s_waitcnt lgkmcnt(0)
	s_load_dwordx4 s[12:15], s[0:1], 0x0
	s_waitcnt lgkmcnt(0)
	v_mad_u64_u32 v[0:1], s[0:1], s14, v2, 0
	v_mad_u64_u32 v[3:4], s[0:1], s12, v38, 0
	;; [unrolled: 1-line block ×3, first 2 shown]
	s_load_dwordx2 s[14:15], s[4:5], 0x0
	v_mad_u64_u32 v[6:7], s[0:1], s13, v38, v[4:5]
	v_mov_b32_e32 v1, v5
	v_lshlrev_b64 v[0:1], 2, v[0:1]
	v_mov_b32_e32 v7, s11
	v_mov_b32_e32 v4, v6
	v_add_co_u32_e32 v5, vcc, s10, v0
	v_addc_co_u32_e32 v6, vcc, v7, v1, vcc
	v_lshlrev_b64 v[0:1], 2, v[3:4]
	s_mul_i32 s0, s13, 27
	s_mul_hi_u32 s1, s12, 27
	v_add_co_u32_e32 v0, vcc, v5, v0
	s_add_i32 s1, s1, s0
	s_mul_i32 s0, s12, 27
	v_addc_co_u32_e32 v1, vcc, v6, v1, vcc
	s_lshl_b64 s[16:17], s[0:1], 2
	global_load_dword v7, v[0:1], off
	v_mov_b32_e32 v4, s17
	v_add_co_u32_e32 v0, vcc, s16, v0
	s_waitcnt lgkmcnt(0)
	global_load_dword v40, v25, s[14:15]
	v_addc_co_u32_e32 v1, vcc, v1, v4, vcc
	global_load_dword v8, v[0:1], off
	global_load_dword v39, v25, s[14:15] offset:108
	v_add_co_u32_e32 v0, vcc, s16, v0
	v_addc_co_u32_e32 v1, vcc, v1, v4, vcc
	global_load_dword v9, v[0:1], off
	global_load_dword v37, v25, s[14:15] offset:216
	v_add_co_u32_e32 v0, vcc, s16, v0
	;; [unrolled: 4-line block ×5, first 2 shown]
	v_addc_co_u32_e32 v4, vcc, v1, v4, vcc
	global_load_dword v13, v[3:4], off
	global_load_dword v33, v25, s[14:15] offset:648
	s_mov_b32 s0, 0xaaaaaaab
	v_mul_hi_u32 v0, v2, s0
	s_load_dwordx2 s[6:7], s[4:5], 0x38
	s_load_dwordx4 s[8:11], s[2:3], 0x0
	v_mov_b32_e32 v1, s15
	v_lshrrev_b32_e32 v0, 1, v0
	v_lshl_add_u32 v14, v0, 1, v0
	v_sub_u32_e32 v14, v2, v14
	v_mul_u32_u24_e32 v14, 0xbd, v14
	v_lshlrev_b32_e32 v42, 2, v14
	v_add_u32_e32 v31, v25, v42
	v_add_co_u32_e32 v0, vcc, s14, v25
	v_addc_co_u32_e32 v1, vcc, 0, v1, vcc
	v_cmp_gt_u16_e32 vcc, 6, v38
	s_waitcnt vmcnt(13)
	v_lshrrev_b32_e32 v14, 16, v7
	s_waitcnt vmcnt(12)
	v_mul_f16_sdwa v15, v40, v7 dst_sel:DWORD dst_unused:UNUSED_PAD src0_sel:WORD_1 src1_sel:DWORD
	v_mul_f16_sdwa v16, v40, v14 dst_sel:DWORD dst_unused:UNUSED_PAD src0_sel:WORD_1 src1_sel:DWORD
	v_fma_f16 v14, v40, v14, -v15
	s_waitcnt vmcnt(11)
	v_lshrrev_b32_e32 v15, 16, v8
	s_waitcnt vmcnt(10)
	v_mul_f16_sdwa v17, v39, v8 dst_sel:DWORD dst_unused:UNUSED_PAD src0_sel:WORD_1 src1_sel:DWORD
	v_fma_f16 v7, v40, v7, v16
	v_mul_f16_sdwa v16, v39, v15 dst_sel:DWORD dst_unused:UNUSED_PAD src0_sel:WORD_1 src1_sel:DWORD
	v_fma_f16 v15, v39, v15, -v17
	s_waitcnt vmcnt(9)
	v_lshrrev_b32_e32 v17, 16, v9
	s_waitcnt vmcnt(8)
	v_mul_f16_sdwa v18, v37, v9 dst_sel:DWORD dst_unused:UNUSED_PAD src0_sel:WORD_1 src1_sel:DWORD
	v_pack_b32_f16 v7, v7, v14
	v_fma_f16 v8, v39, v8, v16
	v_mul_f16_sdwa v14, v37, v17 dst_sel:DWORD dst_unused:UNUSED_PAD src0_sel:WORD_1 src1_sel:DWORD
	v_fma_f16 v16, v37, v17, -v18
	s_waitcnt vmcnt(7)
	v_lshrrev_b32_e32 v17, 16, v10
	v_pack_b32_f16 v8, v8, v15
	v_fma_f16 v9, v37, v9, v14
	s_waitcnt vmcnt(6)
	v_mul_f16_sdwa v14, v36, v17 dst_sel:DWORD dst_unused:UNUSED_PAD src0_sel:WORD_1 src1_sel:DWORD
	ds_write2_b32 v31, v7, v8 offset1:27
	v_pack_b32_f16 v7, v9, v16
	v_mul_f16_sdwa v9, v36, v10 dst_sel:DWORD dst_unused:UNUSED_PAD src0_sel:WORD_1 src1_sel:DWORD
	v_fma_f16 v8, v36, v10, v14
	v_fma_f16 v9, v36, v17, -v9
	v_pack_b32_f16 v8, v8, v9
	ds_write2_b32 v31, v7, v8 offset0:54 offset1:81
	s_waitcnt vmcnt(5)
	v_lshrrev_b32_e32 v7, 16, v11
	s_waitcnt vmcnt(4)
	v_mul_f16_sdwa v8, v35, v7 dst_sel:DWORD dst_unused:UNUSED_PAD src0_sel:WORD_1 src1_sel:DWORD
	v_mul_f16_sdwa v9, v35, v11 dst_sel:DWORD dst_unused:UNUSED_PAD src0_sel:WORD_1 src1_sel:DWORD
	v_fma_f16 v8, v35, v11, v8
	v_fma_f16 v7, v35, v7, -v9
	v_pack_b32_f16 v7, v8, v7
	s_waitcnt vmcnt(3)
	v_lshrrev_b32_e32 v8, 16, v12
	s_waitcnt vmcnt(2)
	v_mul_f16_sdwa v9, v34, v8 dst_sel:DWORD dst_unused:UNUSED_PAD src0_sel:WORD_1 src1_sel:DWORD
	v_mul_f16_sdwa v10, v34, v12 dst_sel:DWORD dst_unused:UNUSED_PAD src0_sel:WORD_1 src1_sel:DWORD
	v_fma_f16 v9, v34, v12, v9
	v_fma_f16 v8, v34, v8, -v10
	v_pack_b32_f16 v8, v9, v8
	ds_write2_b32 v31, v7, v8 offset0:108 offset1:135
	s_waitcnt vmcnt(1)
	v_lshrrev_b32_e32 v7, 16, v13
	s_waitcnt vmcnt(0)
	v_mul_f16_sdwa v8, v33, v7 dst_sel:DWORD dst_unused:UNUSED_PAD src0_sel:WORD_1 src1_sel:DWORD
	v_mul_f16_sdwa v9, v33, v13 dst_sel:DWORD dst_unused:UNUSED_PAD src0_sel:WORD_1 src1_sel:DWORD
	v_fma_f16 v8, v33, v13, v8
	v_fma_f16 v7, v33, v7, -v9
	v_pack_b32_f16 v7, v8, v7
	ds_write_b32 v31, v7 offset:648
	s_and_saveexec_b64 s[2:3], vcc
	s_cbranch_execz .LBB0_3
; %bb.2:
	v_mad_u64_u32 v[7:8], s[0:1], s12, v32, 0
	v_mov_b32_e32 v9, 0xfffffdcc
	v_mad_u64_u32 v[3:4], s[0:1], s12, v9, v[3:4]
	v_mad_u64_u32 v[8:9], s[0:1], s13, v32, v[8:9]
	s_mul_i32 s18, s13, 0xfffffdcc
	s_sub_i32 s0, s18, s12
	v_add_u32_e32 v4, s0, v4
	v_lshlrev_b64 v[7:8], 2, v[7:8]
	v_mov_b32_e32 v10, 0xd8
	global_load_dword v9, v[3:4], off
	v_mad_u64_u32 v[3:4], s[0:1], s12, v10, v[3:4]
	v_add_co_u32_e64 v5, s[0:1], v5, v7
	v_addc_co_u32_e64 v6, s[0:1], v6, v8, s[0:1]
	s_mul_i32 s0, s13, 0xd8
	v_add_u32_e32 v4, s0, v4
	global_load_dword v7, v[0:1], off offset:84
	global_load_dword v8, v[3:4], off
	global_load_dword v10, v[0:1], off offset:192
	global_load_dword v11, v[0:1], off offset:300
	v_mov_b32_e32 v12, s17
	v_add_co_u32_e64 v3, s[0:1], s16, v3
	v_addc_co_u32_e64 v4, s[0:1], v4, v12, s[0:1]
	global_load_dword v13, v[3:4], off
	global_load_dword v14, v[0:1], off offset:408
	global_load_dword v15, v[5:6], off
	v_add_co_u32_e64 v3, s[0:1], s16, v3
	v_addc_co_u32_e64 v4, s[0:1], v4, v12, s[0:1]
	global_load_dword v5, v[3:4], off
	global_load_dword v6, v[0:1], off offset:516
	v_add_co_u32_e64 v3, s[0:1], s16, v3
	v_addc_co_u32_e64 v4, s[0:1], v4, v12, s[0:1]
	global_load_dword v16, v[3:4], off
	global_load_dword v17, v[0:1], off offset:624
	;; [unrolled: 4-line block ×3, first 2 shown]
	s_waitcnt vmcnt(13)
	v_lshrrev_b32_e32 v3, 16, v9
	s_waitcnt vmcnt(12)
	v_mul_f16_sdwa v4, v7, v9 dst_sel:DWORD dst_unused:UNUSED_PAD src0_sel:WORD_1 src1_sel:DWORD
	v_mul_f16_sdwa v19, v7, v3 dst_sel:DWORD dst_unused:UNUSED_PAD src0_sel:WORD_1 src1_sel:DWORD
	v_fma_f16 v3, v7, v3, -v4
	v_fma_f16 v4, v7, v9, v19
	v_pack_b32_f16 v3, v4, v3
	s_waitcnt vmcnt(11)
	v_lshrrev_b32_e32 v4, 16, v8
	s_waitcnt vmcnt(9)
	v_mul_f16_sdwa v7, v11, v8 dst_sel:DWORD dst_unused:UNUSED_PAD src0_sel:WORD_1 src1_sel:DWORD
	v_mul_f16_sdwa v9, v11, v4 dst_sel:DWORD dst_unused:UNUSED_PAD src0_sel:WORD_1 src1_sel:DWORD
	v_fma_f16 v4, v11, v4, -v7
	s_waitcnt vmcnt(8)
	v_lshrrev_b32_e32 v7, 16, v13
	s_waitcnt vmcnt(7)
	v_mul_f16_sdwa v19, v14, v13 dst_sel:DWORD dst_unused:UNUSED_PAD src0_sel:WORD_1 src1_sel:DWORD
	s_waitcnt vmcnt(6)
	v_lshrrev_b32_e32 v20, 16, v15
	v_fma_f16 v8, v11, v8, v9
	v_mul_f16_sdwa v9, v14, v7 dst_sel:DWORD dst_unused:UNUSED_PAD src0_sel:WORD_1 src1_sel:DWORD
	s_waitcnt vmcnt(5)
	v_lshrrev_b32_e32 v11, 16, v5
	v_mul_f16_sdwa v21, v10, v15 dst_sel:DWORD dst_unused:UNUSED_PAD src0_sel:WORD_1 src1_sel:DWORD
	v_fma_f16 v7, v14, v7, -v19
	s_waitcnt vmcnt(4)
	v_mul_f16_sdwa v19, v6, v5 dst_sel:DWORD dst_unused:UNUSED_PAD src0_sel:WORD_1 src1_sel:DWORD
	v_mul_f16_sdwa v22, v10, v20 dst_sel:DWORD dst_unused:UNUSED_PAD src0_sel:WORD_1 src1_sel:DWORD
	v_pack_b32_f16 v4, v8, v4
	v_fma_f16 v8, v14, v13, v9
	v_mul_f16_sdwa v9, v6, v11 dst_sel:DWORD dst_unused:UNUSED_PAD src0_sel:WORD_1 src1_sel:DWORD
	s_waitcnt vmcnt(3)
	v_lshrrev_b32_e32 v13, 16, v16
	v_fma_f16 v20, v10, v20, -v21
	v_fma_f16 v11, v6, v11, -v19
	s_waitcnt vmcnt(2)
	v_mul_f16_sdwa v14, v17, v16 dst_sel:DWORD dst_unused:UNUSED_PAD src0_sel:WORD_1 src1_sel:DWORD
	v_fma_f16 v10, v10, v15, v22
	v_pack_b32_f16 v7, v8, v7
	v_fma_f16 v5, v6, v5, v9
	v_mul_f16_sdwa v6, v17, v13 dst_sel:DWORD dst_unused:UNUSED_PAD src0_sel:WORD_1 src1_sel:DWORD
	s_waitcnt vmcnt(1)
	v_lshrrev_b32_e32 v9, 16, v12
	v_fma_f16 v8, v17, v13, -v14
	s_waitcnt vmcnt(0)
	v_mul_f16_sdwa v13, v18, v12 dst_sel:DWORD dst_unused:UNUSED_PAD src0_sel:WORD_1 src1_sel:DWORD
	v_pack_b32_f16 v10, v10, v20
	ds_write2_b32 v31, v4, v7 offset0:75 offset1:102
	v_pack_b32_f16 v4, v5, v11
	v_fma_f16 v5, v17, v16, v6
	v_mul_f16_sdwa v6, v18, v9 dst_sel:DWORD dst_unused:UNUSED_PAD src0_sel:WORD_1 src1_sel:DWORD
	v_fma_f16 v7, v18, v9, -v13
	ds_write2_b32 v31, v3, v10 offset0:21 offset1:48
	v_pack_b32_f16 v3, v5, v8
	v_fma_f16 v5, v18, v12, v6
	ds_write2_b32 v31, v4, v3 offset0:129 offset1:156
	v_pack_b32_f16 v3, v5, v7
	ds_write_b32 v31, v3 offset:732
.LBB0_3:
	s_or_b64 exec, exec, s[2:3]
	s_waitcnt lgkmcnt(0)
	; wave barrier
	s_waitcnt lgkmcnt(0)
	ds_read2_b32 v[9:10], v31 offset1:27
	ds_read2_b32 v[7:8], v31 offset0:54 offset1:81
	ds_read2_b32 v[11:12], v31 offset0:108 offset1:135
	ds_read_b32 v15, v31 offset:648
	s_load_dwordx2 s[2:3], s[4:5], 0x8
	v_mov_b32_e32 v4, 0
	v_mov_b32_e32 v5, 0
	;; [unrolled: 1-line block ×4, first 2 shown]
                                        ; implicit-def: $vgpr16
	s_and_saveexec_b64 s[0:1], vcc
	s_cbranch_execz .LBB0_5
; %bb.4:
	ds_read2_b32 v[5:6], v31 offset0:75 offset1:102
	ds_read2_b32 v[13:14], v31 offset0:129 offset1:156
	ds_read_b32 v16, v31 offset:732
	ds_read2_b32 v[3:4], v31 offset0:21 offset1:48
.LBB0_5:
	s_or_b64 exec, exec, s[0:1]
	s_waitcnt lgkmcnt(0)
	v_pk_add_f16 v20, v16, v4
	v_pk_add_f16 v4, v4, v16 neg_lo:[0,1] neg_hi:[0,1]
	v_pk_add_f16 v16, v14, v5
	v_add_co_u32_e64 v21, s[0:1], 21, v38
	v_pk_add_f16 v5, v5, v14 neg_lo:[0,1] neg_hi:[0,1]
	v_pk_add_f16 v14, v6, v13
	v_pk_add_f16 v6, v13, v6 neg_lo:[0,1] neg_hi:[0,1]
	v_pk_add_f16 v13, v16, v20
	v_pk_add_f16 v22, v16, v20 neg_lo:[0,1] neg_hi:[0,1]
	v_pk_add_f16 v20, v20, v14 neg_lo:[0,1] neg_hi:[0,1]
	;; [unrolled: 1-line block ×3, first 2 shown]
	v_pk_add_f16 v23, v5, v6 op_sel:[1,1] op_sel_hi:[0,0]
	v_pk_add_f16 v24, v6, v5 op_sel:[1,1] op_sel_hi:[0,0] neg_lo:[0,1] neg_hi:[0,1]
	v_pk_add_f16 v14, v13, v14
	s_movk_i32 s0, 0x3a52
	s_movk_i32 s1, 0x2b26
	s_mov_b32 s5, 0xb846
	v_pk_add_f16 v6, v4, v6 op_sel:[1,1] op_sel_hi:[0,0] neg_lo:[0,1] neg_hi:[0,1]
	v_pk_add_f16 v5, v5, v4 op_sel:[1,1] op_sel_hi:[0,0] neg_lo:[0,1] neg_hi:[0,1]
	v_pk_add_f16 v4, v4, v23 op_sel:[1,0] op_sel_hi:[0,1]
	v_pk_add_f16 v13, v14, v3
	v_pk_mul_f16 v3, v20, s0 op_sel_hi:[1,0]
	v_pk_mul_f16 v20, v16, s1 op_sel_hi:[1,0]
	;; [unrolled: 1-line block ×3, first 2 shown]
	s_movk_i32 s12, 0x3b00
	s_movk_i32 s13, 0x3cab
	;; [unrolled: 1-line block ×3, first 2 shown]
	v_pk_mul_f16 v24, v5, s12 op_sel_hi:[1,0]
	v_pk_fma_f16 v14, v14, s13, v13 op_sel_hi:[1,0,1] neg_lo:[1,0,0] neg_hi:[1,0,0]
	v_pk_fma_f16 v20, v22, s16, v20 op_sel_hi:[1,0,1] neg_lo:[0,0,1] neg_hi:[0,0,1]
	s_movk_i32 s17, 0x3574
	v_pk_fma_f16 v5, v5, s12, v23 op_sel_hi:[1,0,1] neg_lo:[0,0,1] neg_hi:[0,0,1]
	s_movk_i32 s18, 0x370e
	v_pk_fma_f16 v16, v16, s1, v3 op_sel_hi:[1,0,1]
	v_pk_fma_f16 v3, v22, s16, v3 op_sel_hi:[1,0,1] neg_lo:[1,0,1] neg_hi:[1,0,1]
	v_pk_fma_f16 v22, v6, s17, v23 op_sel_hi:[1,0,1]
	v_pk_fma_f16 v6, v6, s17, v24 op_sel_hi:[1,0,1] neg_lo:[1,0,1] neg_hi:[1,0,1]
	v_pk_add_f16 v20, v20, v14
	v_pk_fma_f16 v5, v4, s18, v5 op_sel_hi:[1,0,1]
	v_pk_add_f16 v17, v10, v15
	v_pk_add_f16 v18, v7, v12
	;; [unrolled: 1-line block ×3, first 2 shown]
	v_pk_fma_f16 v22, v4, s18, v22 op_sel_hi:[1,0,1]
	v_pk_fma_f16 v4, v4, s18, v6 op_sel_hi:[1,0,1]
	v_pk_add_f16 v23, v20, v5 neg_lo:[0,1] neg_hi:[0,1]
	v_pk_add_f16 v5, v20, v5
	v_mul_lo_u16_e32 v20, 7, v38
	v_pk_add_f16 v19, v8, v11
	v_pk_add_f16 v16, v16, v14
	;; [unrolled: 1-line block ×3, first 2 shown]
	v_pk_add_f16 v14, v3, v4 neg_lo:[0,1] neg_hi:[0,1]
	s_mov_b32 s4, 0xffff
	v_lshl_add_u32 v44, v20, 2, v42
	v_pk_add_f16 v20, v18, v17
	v_pk_add_f16 v10, v10, v15 neg_lo:[0,1] neg_hi:[0,1]
	v_pk_add_f16 v7, v7, v12 neg_lo:[0,1] neg_hi:[0,1]
	v_bfi_b32 v3, s4, v6, v14
	v_bfi_b32 v6, s4, v14, v6
	v_pk_add_f16 v14, v16, v22 neg_lo:[0,1] neg_hi:[0,1]
	v_pk_add_f16 v16, v16, v22
	v_pk_add_f16 v20, v19, v20
	v_pk_add_f16 v8, v11, v8 neg_lo:[0,1] neg_hi:[0,1]
	v_pk_add_f16 v11, v18, v17 neg_lo:[0,1] neg_hi:[0,1]
	;; [unrolled: 1-line block ×4, first 2 shown]
	v_pk_add_f16 v9, v9, v20
	v_pk_add_f16 v15, v8, v7
	v_pk_add_f16 v17, v10, v8 neg_lo:[0,1] neg_hi:[0,1]
	v_pk_mul_f16 v12, v12, s0 op_sel_hi:[1,0]
	v_pk_mul_f16 v11, v11, s16 op_sel_hi:[1,0]
	;; [unrolled: 1-line block ×3, first 2 shown]
	v_pk_add_f16 v18, v19, v18 neg_lo:[0,1] neg_hi:[0,1]
	v_pk_add_f16 v7, v8, v7 neg_lo:[0,1] neg_hi:[0,1]
	v_bfi_b32 v4, s4, v23, v5
	v_bfi_b32 v5, s4, v5, v23
	v_pk_add_f16 v10, v15, v10
	v_pk_mul_f16 v15, v17, s17 op_sel_hi:[1,0]
	v_pk_add_f16 v23, v12, v11 op_sel:[1,1] op_sel_hi:[0,0] neg_lo:[1,1] neg_hi:[1,1]
	v_pk_fma_f16 v17, v17, s17, v22 op_sel_hi:[1,0,1] neg_lo:[1,0,1] neg_hi:[1,0,1]
	v_pk_fma_f16 v20, v20, s13, v9 op_sel_hi:[1,0,1] neg_lo:[1,0,0] neg_hi:[1,0,0]
	;; [unrolled: 1-line block ×4, first 2 shown]
	v_pk_fma_f16 v17, v10, s18, v17 op_sel_hi:[1,0,1]
	v_pk_add_f16 v23, v23, v20 op_sel:[0,1] op_sel_hi:[1,0]
	v_pk_fma_f16 v11, v10, s18, v11 op_sel_hi:[1,0,1]
	v_pk_add_f16 v8, v8, v20
	v_pk_add_f16 v24, v23, v17
	v_pk_add_f16 v17, v23, v17 neg_lo:[0,1] neg_hi:[0,1]
	v_pk_add_f16 v19, v8, v11 op_sel:[0,1] op_sel_hi:[1,0] neg_lo:[0,1] neg_hi:[0,1]
	v_pk_add_f16 v8, v8, v11 op_sel:[0,1] op_sel_hi:[1,0]
	v_alignbit_b32 v23, v17, v24, 16
	v_bfi_b32 v11, s4, v19, v8
	s_waitcnt lgkmcnt(0)
	; wave barrier
	ds_write2_b32 v44, v23, v11 offset0:2 offset1:3
	v_bfi_b32 v8, s4, v8, v19
	v_alignbit_b32 v11, v24, v17, 16
	ds_write2_b32 v44, v8, v11 offset0:4 offset1:5
	v_pk_fma_f16 v8, v18, s1, v12 op_sel_hi:[1,0,1]
	v_pk_fma_f16 v7, v7, s5, v15 op_sel_hi:[1,0,1]
	;; [unrolled: 1-line block ×3, first 2 shown]
	v_pk_add_f16 v8, v8, v20
	v_pk_add_f16 v10, v8, v7 op_sel:[0,1] op_sel_hi:[1,0]
	v_pk_add_f16 v7, v8, v7 op_sel:[0,1] op_sel_hi:[1,0] neg_lo:[0,1] neg_hi:[0,1]
	v_bfi_b32 v43, s4, v14, v16
	v_bfi_b32 v8, s4, v7, v10
	;; [unrolled: 1-line block ×3, first 2 shown]
	v_mul_u32_u24_e32 v45, 7, v21
	ds_write2_b32 v44, v9, v7 offset1:1
	ds_write_b32 v44, v8 offset:24
	s_and_saveexec_b64 s[0:1], vcc
	s_cbranch_execz .LBB0_7
; %bb.6:
	v_lshl_add_u32 v7, v45, 2, v42
	v_bfi_b32 v8, s4, v16, v14
	ds_write2_b32 v7, v13, v8 offset1:1
	ds_write2_b32 v7, v3, v4 offset0:2 offset1:3
	ds_write2_b32 v7, v5, v6 offset0:4 offset1:5
	ds_write_b32 v7, v43 offset:24
.LBB0_7:
	s_or_b64 exec, exec, s[0:1]
	v_add_co_u32_e64 v17, s[0:1], 42, v38
	v_mov_b32_e32 v11, 37
	v_mul_lo_u16_sdwa v7, v21, v11 dst_sel:DWORD dst_unused:UNUSED_PAD src0_sel:BYTE_0 src1_sel:DWORD
	v_mul_lo_u16_sdwa v9, v17, v11 dst_sel:DWORD dst_unused:UNUSED_PAD src0_sel:BYTE_0 src1_sel:DWORD
	;; [unrolled: 1-line block ×3, first 2 shown]
	v_sub_u16_sdwa v12, v38, v11 dst_sel:DWORD dst_unused:UNUSED_PAD src0_sel:DWORD src1_sel:BYTE_1
	v_sub_u16_sdwa v8, v21, v7 dst_sel:DWORD dst_unused:UNUSED_PAD src0_sel:DWORD src1_sel:BYTE_1
	v_sub_u16_sdwa v10, v17, v9 dst_sel:DWORD dst_unused:UNUSED_PAD src0_sel:DWORD src1_sel:BYTE_1
	v_lshrrev_b16_e32 v12, 1, v12
	v_lshrrev_b16_e32 v8, 1, v8
	;; [unrolled: 1-line block ×3, first 2 shown]
	v_and_b32_e32 v12, 0x7f, v12
	v_and_b32_e32 v8, 0x7f, v8
	;; [unrolled: 1-line block ×3, first 2 shown]
	v_add_u16_sdwa v11, v12, v11 dst_sel:DWORD dst_unused:UNUSED_PAD src0_sel:DWORD src1_sel:BYTE_1
	v_add_u16_sdwa v7, v8, v7 dst_sel:DWORD dst_unused:UNUSED_PAD src0_sel:DWORD src1_sel:BYTE_1
	;; [unrolled: 1-line block ×3, first 2 shown]
	v_lshrrev_b16_e32 v28, 2, v11
	v_lshrrev_b16_e32 v20, 2, v7
	;; [unrolled: 1-line block ×3, first 2 shown]
	v_mul_lo_u16_e32 v11, 7, v28
	v_mul_lo_u16_e32 v7, 7, v20
	;; [unrolled: 1-line block ×3, first 2 shown]
	v_sub_u16_e32 v29, v38, v11
	v_sub_u16_e32 v24, v21, v7
	v_mov_b32_e32 v7, 3
	v_sub_u16_e32 v27, v17, v9
	v_lshlrev_b16_e32 v11, 1, v29
	v_lshlrev_b32_sdwa v8, v7, v24 dst_sel:DWORD dst_unused:UNUSED_PAD src0_sel:DWORD src1_sel:BYTE_0
	v_lshlrev_b32_sdwa v7, v7, v27 dst_sel:DWORD dst_unused:UNUSED_PAD src0_sel:DWORD src1_sel:BYTE_0
	v_and_b32_e32 v11, 0xfe, v11
	s_waitcnt lgkmcnt(0)
	; wave barrier
	s_waitcnt lgkmcnt(0)
	global_load_dwordx2 v[9:10], v8, s[2:3]
	v_lshlrev_b32_e32 v11, 2, v11
	global_load_dwordx2 v[7:8], v7, s[2:3]
	s_movk_i32 s5, 0x3aee
	global_load_dwordx2 v[11:12], v11, s[2:3]
	ds_read2_b32 v[13:14], v31 offset0:126 offset1:147
	ds_read2_b32 v[15:16], v31 offset0:84 offset1:105
	;; [unrolled: 1-line block ×3, first 2 shown]
	ds_read_b32 v30, v31 offset:672
	ds_read2_b32 v[22:23], v31 offset1:21
	s_waitcnt lgkmcnt(4)
	v_lshrrev_b32_e32 v47, 16, v14
	s_waitcnt lgkmcnt(3)
	v_lshrrev_b32_e32 v46, 16, v15
	v_lshrrev_b32_e32 v48, 16, v16
	v_lshrrev_b32_e32 v41, 16, v13
	s_waitcnt lgkmcnt(2)
	v_lshrrev_b32_e32 v49, 16, v19
	s_waitcnt lgkmcnt(0)
	v_lshrrev_b32_e32 v51, 16, v22
	v_lshrrev_b32_e32 v50, 16, v30
	;; [unrolled: 1-line block ×3, first 2 shown]
	s_mov_b32 s12, 0xbaee
	v_mad_legacy_u16 v28, v28, 21, v29
	v_and_b32_e32 v28, 0xff, v28
	s_waitcnt lgkmcnt(0)
	; wave barrier
	s_movk_i32 s0, 0x87
	v_lshlrev_b32_e32 v21, 3, v21
	s_waitcnt vmcnt(2)
	v_mul_f16_sdwa v53, v46, v9 dst_sel:DWORD dst_unused:UNUSED_PAD src0_sel:DWORD src1_sel:WORD_1
	v_mul_f16_sdwa v54, v15, v9 dst_sel:DWORD dst_unused:UNUSED_PAD src0_sel:DWORD src1_sel:WORD_1
	s_waitcnt vmcnt(1)
	v_mul_f16_sdwa v55, v48, v7 dst_sel:DWORD dst_unused:UNUSED_PAD src0_sel:DWORD src1_sel:WORD_1
	v_mul_f16_sdwa v58, v47, v10 dst_sel:DWORD dst_unused:UNUSED_PAD src0_sel:DWORD src1_sel:WORD_1
	;; [unrolled: 1-line block ×4, first 2 shown]
	v_fma_f16 v15, v15, v9, -v53
	v_fma_f16 v16, v16, v7, -v55
	v_fma_f16 v46, v46, v9, v54
	v_fma_f16 v14, v14, v10, -v58
	s_waitcnt vmcnt(0)
	v_mul_f16_sdwa v54, v13, v12 dst_sel:DWORD dst_unused:UNUSED_PAD src0_sel:DWORD src1_sel:WORD_1
	v_mul_f16_sdwa v55, v19, v11 dst_sel:DWORD dst_unused:UNUSED_PAD src0_sel:DWORD src1_sel:WORD_1
	v_fma_f16 v47, v47, v10, v57
	v_fma_f16 v48, v48, v7, v56
	v_mul_f16_sdwa v53, v41, v12 dst_sel:DWORD dst_unused:UNUSED_PAD src0_sel:DWORD src1_sel:WORD_1
	v_mul_f16_sdwa v56, v49, v11 dst_sel:DWORD dst_unused:UNUSED_PAD src0_sel:DWORD src1_sel:WORD_1
	v_add_f16_e32 v57, v15, v14
	v_fma_f16 v41, v41, v12, v54
	v_fma_f16 v49, v49, v11, v55
	v_add_f16_e32 v58, v23, v15
	v_fma_f16 v13, v13, v12, -v53
	v_fma_f16 v19, v19, v11, -v56
	v_fma_f16 v23, v57, -0.5, v23
	v_sub_f16_e32 v56, v49, v41
	v_add_f16_e32 v57, v51, v49
	v_add_f16_e32 v49, v49, v41
	v_mul_f16_sdwa v59, v50, v8 dst_sel:DWORD dst_unused:UNUSED_PAD src0_sel:DWORD src1_sel:WORD_1
	v_add_f16_e32 v53, v19, v13
	v_add_f16_e32 v54, v22, v19
	v_sub_f16_e32 v19, v19, v13
	v_fma_f16 v49, v49, -0.5, v51
	v_mul_f16_sdwa v60, v30, v8 dst_sel:DWORD dst_unused:UNUSED_PAD src0_sel:DWORD src1_sel:WORD_1
	v_fma_f16 v30, v30, v8, -v59
	v_sub_f16_e32 v59, v46, v47
	v_fma_f16 v22, v53, -0.5, v22
	v_fma_f16 v53, v19, s12, v49
	v_fma_f16 v19, v19, s5, v49
	v_add_f16_e32 v49, v52, v46
	v_add_f16_e32 v46, v46, v47
	v_fma_f16 v46, v46, -0.5, v52
	v_add_f16_e32 v52, v58, v14
	v_sub_f16_e32 v14, v15, v14
	v_fma_f16 v50, v50, v8, v60
	v_fma_f16 v15, v14, s12, v46
	;; [unrolled: 1-line block ×3, first 2 shown]
	v_add_f16_e32 v46, v16, v30
	v_add_f16_e32 v13, v54, v13
	;; [unrolled: 1-line block ×3, first 2 shown]
	v_fma_f16 v46, v46, -0.5, v18
	v_lshrrev_b32_e32 v47, 16, v18
	v_sub_f16_e32 v54, v48, v50
	v_fma_f16 v51, v56, s5, v22
	v_fma_f16 v22, v56, s12, v22
	;; [unrolled: 1-line block ×4, first 2 shown]
	v_add_f16_e32 v46, v47, v48
	v_add_f16_e32 v41, v57, v41
	v_add_f16_e32 v57, v46, v50
	v_add_f16_e32 v46, v48, v50
	v_add_f16_e32 v18, v18, v16
	v_fma_f16 v46, v46, -0.5, v47
	v_sub_f16_e32 v16, v16, v30
	v_add_f16_e32 v18, v18, v30
	v_fma_f16 v30, v16, s12, v46
	v_fma_f16 v16, v16, s5, v46
	v_pack_b32_f16 v13, v13, v41
	v_lshl_add_u32 v46, v28, 2, v42
	v_pack_b32_f16 v28, v51, v53
	ds_write2_b32 v46, v13, v28 offset1:7
	v_pack_b32_f16 v13, v22, v19
	ds_write_b32 v46, v13 offset:56
	v_mul_u32_u24_e32 v13, 21, v20
	v_fma_f16 v55, v59, s5, v23
	v_add_u32_sdwa v13, v13, v24 dst_sel:DWORD dst_unused:UNUSED_PAD src0_sel:DWORD src1_sel:BYTE_0
	v_fma_f16 v23, v59, s12, v23
	v_lshl_add_u32 v47, v13, 2, v42
	v_pack_b32_f16 v13, v52, v49
	v_pack_b32_f16 v15, v55, v15
	ds_write2_b32 v47, v13, v15 offset1:7
	v_pack_b32_f16 v13, v23, v14
	ds_write_b32 v47, v13 offset:56
	v_mul_u32_u24_e32 v13, 21, v26
	v_add_u32_sdwa v13, v13, v27 dst_sel:DWORD dst_unused:UNUSED_PAD src0_sel:DWORD src1_sel:BYTE_0
	v_lshl_add_u32 v48, v13, 2, v42
	v_pack_b32_f16 v13, v18, v57
	v_pack_b32_f16 v14, v56, v30
	ds_write2_b32 v48, v13, v14 offset1:7
	v_pack_b32_f16 v13, v54, v16
	v_lshlrev_b32_e32 v28, 3, v38
	ds_write_b32 v48, v13 offset:56
	s_waitcnt lgkmcnt(0)
	; wave barrier
	s_waitcnt lgkmcnt(0)
	global_load_dwordx2 v[13:14], v28, s[2:3] offset:56
	v_mul_lo_u16_sdwa v15, v17, s0 dst_sel:DWORD dst_unused:UNUSED_PAD src0_sel:BYTE_0 src1_sel:DWORD
	v_sub_u16_sdwa v16, v17, v15 dst_sel:DWORD dst_unused:UNUSED_PAD src0_sel:DWORD src1_sel:BYTE_1
	v_lshrrev_b16_e32 v16, 1, v16
	v_and_b32_e32 v16, 0x7f, v16
	v_add_u16_sdwa v15, v16, v15 dst_sel:DWORD dst_unused:UNUSED_PAD src0_sel:DWORD src1_sel:BYTE_1
	v_lshrrev_b16_e32 v15, 4, v15
	v_and_b32_e32 v15, 15, v15
	v_mul_lo_u16_e32 v15, 21, v15
	v_sub_u16_e32 v20, v17, v15
	v_lshlrev_b16_e32 v15, 3, v20
	v_and_b32_e32 v15, 0xf8, v15
	v_mov_b32_e32 v16, s3
	v_add_co_u32_e64 v15, s[0:1], s2, v15
	v_addc_co_u32_e64 v16, s[0:1], 0, v16, s[0:1]
	global_load_dwordx2 v[15:16], v[15:16], off offset:56
	ds_read2_b32 v[18:19], v31 offset1:21
	ds_read2_b32 v[22:23], v31 offset0:42 offset1:63
	ds_read2_b32 v[26:27], v31 offset0:126 offset1:147
	s_waitcnt lgkmcnt(2)
	v_lshrrev_b32_e32 v24, 16, v18
	s_waitcnt lgkmcnt(1)
	v_lshrrev_b32_e32 v29, 16, v23
	;; [unrolled: 2-line block ×3, first 2 shown]
	s_waitcnt vmcnt(1)
	v_mul_f16_sdwa v41, v29, v13 dst_sel:DWORD dst_unused:UNUSED_PAD src0_sel:DWORD src1_sel:WORD_1
	v_mul_f16_sdwa v49, v23, v13 dst_sel:DWORD dst_unused:UNUSED_PAD src0_sel:DWORD src1_sel:WORD_1
	;; [unrolled: 1-line block ×3, first 2 shown]
	v_fma_f16 v23, v23, v13, -v41
	v_fma_f16 v29, v29, v13, v49
	v_fma_f16 v41, v26, v14, -v50
	v_mul_f16_sdwa v26, v26, v14 dst_sel:DWORD dst_unused:UNUSED_PAD src0_sel:DWORD src1_sel:WORD_1
	v_fma_f16 v26, v30, v14, v26
	v_add_f16_e32 v49, v24, v29
	v_sub_f16_e32 v30, v29, v26
	v_add_f16_e32 v49, v49, v26
	v_add_f16_e32 v26, v29, v26
	;; [unrolled: 1-line block ×3, first 2 shown]
	v_fma_f16 v26, v26, -0.5, v24
	v_add_f16_e32 v24, v23, v41
	v_add_f16_e32 v29, v29, v41
	v_fma_f16 v18, v24, -0.5, v18
	v_sub_f16_e32 v41, v23, v41
	v_fma_f16 v23, v30, s5, v18
	v_fma_f16 v24, v41, s12, v26
	v_pack_b32_f16 v29, v29, v49
	v_pack_b32_f16 v49, v23, v24
	ds_read_b32 v50, v31 offset:672
	ds_read2_b32 v[23:24], v31 offset0:84 offset1:105
	s_waitcnt lgkmcnt(0)
	; wave barrier
	s_waitcnt lgkmcnt(0)
	ds_write2_b32 v31, v29, v49 offset1:21
	v_lshrrev_b32_e32 v29, 16, v27
	v_mul_f16_sdwa v49, v29, v14 dst_sel:DWORD dst_unused:UNUSED_PAD src0_sel:DWORD src1_sel:WORD_1
	v_fma_f16 v49, v27, v14, -v49
	v_mul_f16_sdwa v27, v27, v14 dst_sel:DWORD dst_unused:UNUSED_PAD src0_sel:DWORD src1_sel:WORD_1
	v_fma_f16 v27, v29, v14, v27
	v_lshrrev_b32_e32 v29, 16, v23
	v_mul_f16_sdwa v51, v23, v13 dst_sel:DWORD dst_unused:UNUSED_PAD src0_sel:DWORD src1_sel:WORD_1
	v_fma_f16 v51, v29, v13, v51
	v_mul_f16_sdwa v29, v29, v13 dst_sel:DWORD dst_unused:UNUSED_PAD src0_sel:DWORD src1_sel:WORD_1
	v_fma_f16 v23, v23, v13, -v29
	v_lshrrev_b32_e32 v29, 16, v24
	s_waitcnt vmcnt(0)
	v_mul_f16_sdwa v52, v29, v15 dst_sel:DWORD dst_unused:UNUSED_PAD src0_sel:DWORD src1_sel:WORD_1
	v_fma_f16 v52, v24, v15, -v52
	v_mul_f16_sdwa v24, v24, v15 dst_sel:DWORD dst_unused:UNUSED_PAD src0_sel:DWORD src1_sel:WORD_1
	v_fma_f16 v24, v29, v15, v24
	v_lshrrev_b32_e32 v29, 16, v50
	v_mul_f16_sdwa v53, v29, v16 dst_sel:DWORD dst_unused:UNUSED_PAD src0_sel:DWORD src1_sel:WORD_1
	v_fma_f16 v53, v50, v16, -v53
	v_mul_f16_sdwa v50, v50, v16 dst_sel:DWORD dst_unused:UNUSED_PAD src0_sel:DWORD src1_sel:WORD_1
	v_fma_f16 v18, v30, s12, v18
	v_add_f16_e32 v30, v23, v49
	v_fma_f16 v29, v29, v16, v50
	v_fma_f16 v26, v41, s5, v26
	v_fma_f16 v30, v30, -0.5, v19
	v_lshrrev_b32_e32 v41, 16, v19
	v_sub_f16_e32 v50, v51, v27
	v_fma_f16 v54, v50, s5, v30
	v_fma_f16 v30, v50, s12, v30
	v_add_f16_e32 v50, v41, v51
	v_add_f16_e32 v50, v50, v27
	;; [unrolled: 1-line block ×4, first 2 shown]
	v_fma_f16 v27, v27, -0.5, v41
	v_sub_f16_e32 v23, v23, v49
	v_fma_f16 v41, v23, s12, v27
	v_fma_f16 v23, v23, s5, v27
	v_add_f16_e32 v27, v52, v53
	v_add_f16_e32 v19, v19, v49
	v_fma_f16 v27, v27, -0.5, v22
	v_lshrrev_b32_e32 v49, 16, v22
	v_sub_f16_e32 v51, v24, v29
	v_fma_f16 v55, v51, s5, v27
	v_fma_f16 v27, v51, s12, v27
	v_add_f16_e32 v51, v49, v24
	v_add_f16_e32 v24, v24, v29
	v_pack_b32_f16 v18, v18, v26
	v_pack_b32_f16 v19, v19, v50
	v_add_f16_e32 v22, v22, v52
	v_add_f16_e32 v51, v51, v29
	v_fma_f16 v24, v24, -0.5, v49
	v_sub_f16_e32 v29, v52, v53
	ds_write2_b32 v31, v18, v19 offset0:42 offset1:63
	v_pack_b32_f16 v18, v54, v41
	v_pack_b32_f16 v19, v30, v23
	v_add_f16_e32 v22, v22, v53
	v_fma_f16 v52, v29, s12, v24
	ds_write2_b32 v31, v18, v19 offset0:84 offset1:105
	v_and_b32_e32 v18, 0xff, v20
	v_fma_f16 v24, v29, s5, v24
	v_lshl_add_u32 v49, v18, 2, v42
	v_pack_b32_f16 v18, v22, v51
	v_pack_b32_f16 v19, v55, v52
	ds_write2_b32 v49, v18, v19 offset0:126 offset1:147
	v_pack_b32_f16 v18, v27, v24
	v_lshlrev_b32_e32 v22, 3, v17
	ds_write_b32 v49, v18 offset:672
	s_waitcnt lgkmcnt(0)
	; wave barrier
	s_waitcnt lgkmcnt(0)
	global_load_dwordx2 v[17:18], v22, s[2:3] offset:224
	global_load_dwordx2 v[19:20], v28, s[2:3] offset:224
	s_nop 0
	global_load_dwordx2 v[21:22], v21, s[2:3] offset:224
	ds_read2_b32 v[26:27], v31 offset0:84 offset1:105
	ds_read2_b32 v[28:29], v31 offset0:42 offset1:63
	ds_read_b32 v23, v31 offset:672
	ds_read2_b32 v[50:51], v31 offset0:126 offset1:147
	s_waitcnt vmcnt(2) lgkmcnt(3)
	v_pk_mul_f16 v24, v27, v17 op_sel:[0,1]
	v_pk_fma_f16 v30, v27, v17, v24 op_sel:[0,0,1] op_sel_hi:[1,1,0] neg_lo:[0,0,1] neg_hi:[0,0,1]
	v_pk_fma_f16 v24, v27, v17, v24 op_sel:[0,0,1] op_sel_hi:[1,0,0]
	v_bfi_b32 v27, s4, v30, v24
	s_waitcnt lgkmcnt(1)
	v_pk_mul_f16 v24, v23, v18 op_sel:[0,1]
	v_pk_fma_f16 v30, v23, v18, v24 op_sel:[0,0,1] op_sel_hi:[1,1,0] neg_lo:[0,0,1] neg_hi:[0,0,1]
	v_pk_fma_f16 v23, v23, v18, v24 op_sel:[0,0,1] op_sel_hi:[1,0,0]
	v_bfi_b32 v52, s4, v30, v23
	v_pk_add_f16 v23, v27, v52
	v_pk_add_f16 v24, v27, v52 neg_lo:[0,1] neg_hi:[0,1]
	v_pk_fma_f16 v23, v23, -0.5, v28 op_sel_hi:[1,0,1]
	v_pk_mul_f16 v24, v24, s5 op_sel_hi:[1,0]
	v_pk_add_f16 v30, v23, v24 op_sel:[0,1] op_sel_hi:[1,0]
	v_pk_add_f16 v24, v23, v24 op_sel:[0,1] op_sel_hi:[1,0] neg_lo:[0,1] neg_hi:[0,1]
	v_bfi_b32 v23, s4, v30, v24
	v_bfi_b32 v24, s4, v24, v30
	v_lshrrev_b32_e32 v30, 16, v29
	s_waitcnt vmcnt(1)
	v_mul_f16_sdwa v41, v29, v19 dst_sel:DWORD dst_unused:UNUSED_PAD src0_sel:DWORD src1_sel:WORD_1
	v_fma_f16 v53, v30, v19, v41
	v_mul_f16_sdwa v30, v30, v19 dst_sel:DWORD dst_unused:UNUSED_PAD src0_sel:DWORD src1_sel:WORD_1
	v_fma_f16 v54, v29, v19, -v30
	ds_read2_b32 v[29:30], v31 offset1:21
	s_waitcnt lgkmcnt(1)
	v_lshrrev_b32_e32 v41, 16, v50
	v_mul_f16_sdwa v55, v50, v20 dst_sel:DWORD dst_unused:UNUSED_PAD src0_sel:DWORD src1_sel:WORD_1
	v_fma_f16 v55, v41, v20, v55
	v_mul_f16_sdwa v41, v41, v20 dst_sel:DWORD dst_unused:UNUSED_PAD src0_sel:DWORD src1_sel:WORD_1
	v_fma_f16 v50, v50, v20, -v41
	v_add_f16_e32 v41, v54, v50
	s_waitcnt lgkmcnt(0)
	v_fma_f16 v41, v41, -0.5, v29
	v_sub_f16_e32 v56, v53, v55
	v_fma_f16 v57, v56, s5, v41
	v_fma_f16 v41, v56, s12, v41
	v_lshrrev_b32_e32 v56, 16, v29
	v_add_f16_e32 v58, v53, v55
	v_fma_f16 v58, v58, -0.5, v56
	v_sub_f16_e32 v59, v54, v50
	v_fma_f16 v60, v59, s12, v58
	v_fma_f16 v58, v59, s5, v58
	v_pack_b32_f16 v57, v57, v60
	v_pack_b32_f16 v58, v41, v58
	v_lshl_add_u32 v41, v38, 2, v42
	ds_write2_b32 v41, v57, v58 offset0:63 offset1:126
	v_lshrrev_b32_e32 v57, 16, v26
	s_waitcnt vmcnt(0)
	v_mul_f16_sdwa v58, v57, v21 dst_sel:DWORD dst_unused:UNUSED_PAD src0_sel:DWORD src1_sel:WORD_1
	v_fma_f16 v58, v26, v21, -v58
	v_mul_f16_sdwa v26, v26, v21 dst_sel:DWORD dst_unused:UNUSED_PAD src0_sel:DWORD src1_sel:WORD_1
	v_fma_f16 v26, v57, v21, v26
	v_lshrrev_b32_e32 v57, 16, v51
	v_mul_f16_sdwa v59, v57, v22 dst_sel:DWORD dst_unused:UNUSED_PAD src0_sel:DWORD src1_sel:WORD_1
	v_fma_f16 v59, v51, v22, -v59
	v_mul_f16_sdwa v51, v51, v22 dst_sel:DWORD dst_unused:UNUSED_PAD src0_sel:DWORD src1_sel:WORD_1
	v_add_f16_e32 v29, v29, v54
	v_fma_f16 v51, v57, v22, v51
	v_add_f16_e32 v29, v29, v50
	v_add_f16_e32 v50, v56, v53
	;; [unrolled: 1-line block ×4, first 2 shown]
	v_fma_f16 v53, v53, -0.5, v30
	v_lshrrev_b32_e32 v54, 16, v30
	v_sub_f16_e32 v55, v26, v51
	v_fma_f16 v56, v55, s5, v53
	v_fma_f16 v53, v55, s12, v53
	v_add_f16_e32 v55, v54, v26
	v_add_f16_e32 v26, v26, v51
	;; [unrolled: 1-line block ×4, first 2 shown]
	v_fma_f16 v26, v26, -0.5, v54
	v_sub_f16_e32 v51, v58, v59
	v_add_f16_e32 v30, v30, v59
	v_fma_f16 v54, v51, s12, v26
	v_fma_f16 v26, v51, s5, v26
	v_pack_b32_f16 v29, v29, v50
	ds_write_b32 v31, v29
	v_pack_b32_f16 v29, v30, v55
	v_pack_b32_f16 v26, v53, v26
	ds_write_b32 v41, v29 offset:84
	ds_write_b32 v31, v26 offset:588
	v_pk_add_f16 v26, v28, v27
	v_pack_b32_f16 v29, v56, v54
	v_pk_add_f16 v26, v26, v52
	ds_write_b32 v31, v29 offset:336
	ds_write_b32 v41, v26 offset:168
	;; [unrolled: 1-line block ×4, first 2 shown]
	s_waitcnt lgkmcnt(0)
	; wave barrier
	s_waitcnt lgkmcnt(0)
	global_load_dword v28, v[0:1], off offset:756
	s_add_u32 s4, s14, 0x2f4
	s_addc_u32 s5, s15, 0
	global_load_dword v29, v25, s[4:5] offset:108
	global_load_dword v30, v25, s[4:5] offset:216
	;; [unrolled: 1-line block ×6, first 2 shown]
	ds_read2_b32 v[26:27], v31 offset1:27
	s_waitcnt lgkmcnt(0)
	v_lshrrev_b32_e32 v54, 16, v26
	s_waitcnt vmcnt(5)
	v_mul_f16_sdwa v57, v27, v29 dst_sel:DWORD dst_unused:UNUSED_PAD src0_sel:DWORD src1_sel:WORD_1
	v_mul_f16_sdwa v55, v26, v28 dst_sel:DWORD dst_unused:UNUSED_PAD src0_sel:DWORD src1_sel:WORD_1
	v_fma_f16 v55, v54, v28, v55
	v_mul_f16_sdwa v54, v54, v28 dst_sel:DWORD dst_unused:UNUSED_PAD src0_sel:DWORD src1_sel:WORD_1
	v_fma_f16 v28, v26, v28, -v54
	v_lshrrev_b32_e32 v54, 16, v27
	v_mul_f16_sdwa v26, v54, v29 dst_sel:DWORD dst_unused:UNUSED_PAD src0_sel:DWORD src1_sel:WORD_1
	v_fma_f16 v56, v27, v29, -v26
	ds_read2_b32 v[26:27], v31 offset0:54 offset1:81
	v_fma_f16 v29, v54, v29, v57
	v_pack_b32_f16 v28, v28, v55
	v_pack_b32_f16 v29, v56, v29
	ds_write2_b32 v31, v28, v29 offset1:27
	s_waitcnt lgkmcnt(1)
	v_lshrrev_b32_e32 v28, 16, v26
	s_waitcnt vmcnt(4)
	v_mul_f16_sdwa v29, v26, v30 dst_sel:DWORD dst_unused:UNUSED_PAD src0_sel:DWORD src1_sel:WORD_1
	v_fma_f16 v29, v28, v30, v29
	v_mul_f16_sdwa v28, v28, v30 dst_sel:DWORD dst_unused:UNUSED_PAD src0_sel:DWORD src1_sel:WORD_1
	v_fma_f16 v28, v26, v30, -v28
	v_lshrrev_b32_e32 v30, 16, v27
	s_waitcnt vmcnt(3)
	v_mul_f16_sdwa v26, v30, v50 dst_sel:DWORD dst_unused:UNUSED_PAD src0_sel:DWORD src1_sel:WORD_1
	v_fma_f16 v54, v27, v50, -v26
	v_mul_f16_sdwa v55, v27, v50 dst_sel:DWORD dst_unused:UNUSED_PAD src0_sel:DWORD src1_sel:WORD_1
	ds_read2_b32 v[26:27], v31 offset0:108 offset1:135
	v_fma_f16 v30, v30, v50, v55
	v_pack_b32_f16 v28, v28, v29
	v_pack_b32_f16 v29, v54, v30
	ds_write2_b32 v31, v28, v29 offset0:54 offset1:81
	s_waitcnt lgkmcnt(1)
	v_lshrrev_b32_e32 v28, 16, v26
	s_waitcnt vmcnt(2)
	v_mul_f16_sdwa v29, v26, v51 dst_sel:DWORD dst_unused:UNUSED_PAD src0_sel:DWORD src1_sel:WORD_1
	v_fma_f16 v29, v28, v51, v29
	v_mul_f16_sdwa v28, v28, v51 dst_sel:DWORD dst_unused:UNUSED_PAD src0_sel:DWORD src1_sel:WORD_1
	v_fma_f16 v26, v26, v51, -v28
	v_lshrrev_b32_e32 v28, 16, v27
	ds_read_b32 v30, v31 offset:648
	v_pack_b32_f16 v26, v26, v29
	s_waitcnt vmcnt(1)
	v_mul_f16_sdwa v29, v28, v52 dst_sel:DWORD dst_unused:UNUSED_PAD src0_sel:DWORD src1_sel:WORD_1
	v_fma_f16 v29, v27, v52, -v29
	v_mul_f16_sdwa v27, v27, v52 dst_sel:DWORD dst_unused:UNUSED_PAD src0_sel:DWORD src1_sel:WORD_1
	v_fma_f16 v27, v28, v52, v27
	v_pack_b32_f16 v27, v29, v27
	ds_write2_b32 v31, v26, v27 offset0:108 offset1:135
	s_waitcnt lgkmcnt(1)
	v_lshrrev_b32_e32 v26, 16, v30
	s_waitcnt vmcnt(0)
	v_mul_f16_sdwa v27, v26, v53 dst_sel:DWORD dst_unused:UNUSED_PAD src0_sel:DWORD src1_sel:WORD_1
	v_mul_f16_sdwa v28, v30, v53 dst_sel:DWORD dst_unused:UNUSED_PAD src0_sel:DWORD src1_sel:WORD_1
	v_fma_f16 v27, v30, v53, -v27
	v_fma_f16 v26, v26, v53, v28
	v_pack_b32_f16 v26, v27, v26
	ds_write_b32 v31, v26 offset:648
	s_and_saveexec_b64 s[2:3], vcc
	s_cbranch_execz .LBB0_9
; %bb.8:
	v_add_co_u32_e64 v25, s[0:1], s4, v25
	v_mov_b32_e32 v26, s5
	v_addc_co_u32_e64 v26, s[0:1], 0, v26, s[0:1]
	global_load_dword v30, v[25:26], off offset:84
	ds_read2_b32 v[27:28], v41 offset0:21 offset1:48
	s_waitcnt lgkmcnt(0)
	v_lshrrev_b32_e32 v29, 16, v27
	s_waitcnt vmcnt(0)
	v_mul_f16_sdwa v50, v29, v30 dst_sel:DWORD dst_unused:UNUSED_PAD src0_sel:DWORD src1_sel:WORD_1
	v_fma_f16 v50, v27, v30, -v50
	v_mul_f16_sdwa v27, v27, v30 dst_sel:DWORD dst_unused:UNUSED_PAD src0_sel:DWORD src1_sel:WORD_1
	v_fma_f16 v27, v29, v30, v27
	global_load_dword v30, v[25:26], off offset:192
	v_lshrrev_b32_e32 v29, 16, v28
	v_pack_b32_f16 v27, v50, v27
	s_waitcnt vmcnt(0)
	v_mul_f16_sdwa v50, v29, v30 dst_sel:DWORD dst_unused:UNUSED_PAD src0_sel:DWORD src1_sel:WORD_1
	v_fma_f16 v50, v28, v30, -v50
	v_mul_f16_sdwa v28, v28, v30 dst_sel:DWORD dst_unused:UNUSED_PAD src0_sel:DWORD src1_sel:WORD_1
	v_fma_f16 v28, v29, v30, v28
	global_load_dword v30, v[25:26], off offset:300
	v_pack_b32_f16 v28, v50, v28
	ds_write2_b32 v41, v27, v28 offset0:21 offset1:48
	ds_read2_b32 v[27:28], v41 offset0:75 offset1:102
	s_waitcnt lgkmcnt(0)
	v_lshrrev_b32_e32 v29, 16, v27
	s_waitcnt vmcnt(0)
	v_mul_f16_sdwa v50, v29, v30 dst_sel:DWORD dst_unused:UNUSED_PAD src0_sel:DWORD src1_sel:WORD_1
	v_fma_f16 v50, v27, v30, -v50
	v_mul_f16_sdwa v27, v27, v30 dst_sel:DWORD dst_unused:UNUSED_PAD src0_sel:DWORD src1_sel:WORD_1
	v_fma_f16 v27, v29, v30, v27
	global_load_dword v30, v[25:26], off offset:408
	v_lshrrev_b32_e32 v29, 16, v28
	v_pack_b32_f16 v27, v50, v27
	s_waitcnt vmcnt(0)
	v_mul_f16_sdwa v50, v29, v30 dst_sel:DWORD dst_unused:UNUSED_PAD src0_sel:DWORD src1_sel:WORD_1
	v_fma_f16 v50, v28, v30, -v50
	v_mul_f16_sdwa v28, v28, v30 dst_sel:DWORD dst_unused:UNUSED_PAD src0_sel:DWORD src1_sel:WORD_1
	v_fma_f16 v28, v29, v30, v28
	global_load_dword v30, v[25:26], off offset:516
	v_pack_b32_f16 v28, v50, v28
	ds_write2_b32 v41, v27, v28 offset0:75 offset1:102
	ds_read2_b32 v[27:28], v41 offset0:129 offset1:156
	s_waitcnt lgkmcnt(0)
	v_lshrrev_b32_e32 v29, 16, v27
	s_waitcnt vmcnt(0)
	v_mul_f16_sdwa v50, v29, v30 dst_sel:DWORD dst_unused:UNUSED_PAD src0_sel:DWORD src1_sel:WORD_1
	v_fma_f16 v50, v27, v30, -v50
	v_mul_f16_sdwa v27, v27, v30 dst_sel:DWORD dst_unused:UNUSED_PAD src0_sel:DWORD src1_sel:WORD_1
	v_fma_f16 v27, v29, v30, v27
	global_load_dword v30, v[25:26], off offset:624
	v_lshrrev_b32_e32 v29, 16, v28
	global_load_dword v25, v[25:26], off offset:732
	v_pack_b32_f16 v27, v50, v27
	s_waitcnt vmcnt(1)
	v_mul_f16_sdwa v50, v29, v30 dst_sel:DWORD dst_unused:UNUSED_PAD src0_sel:DWORD src1_sel:WORD_1
	v_fma_f16 v50, v28, v30, -v50
	v_mul_f16_sdwa v28, v28, v30 dst_sel:DWORD dst_unused:UNUSED_PAD src0_sel:DWORD src1_sel:WORD_1
	v_fma_f16 v28, v29, v30, v28
	v_pack_b32_f16 v28, v50, v28
	ds_write2_b32 v41, v27, v28 offset0:129 offset1:156
	ds_read_b32 v27, v41 offset:732
	s_waitcnt lgkmcnt(0)
	v_lshrrev_b32_e32 v28, 16, v27
	s_waitcnt vmcnt(0)
	v_mul_f16_sdwa v26, v28, v25 dst_sel:DWORD dst_unused:UNUSED_PAD src0_sel:DWORD src1_sel:WORD_1
	v_fma_f16 v26, v27, v25, -v26
	v_mul_f16_sdwa v27, v27, v25 dst_sel:DWORD dst_unused:UNUSED_PAD src0_sel:DWORD src1_sel:WORD_1
	v_fma_f16 v25, v28, v25, v27
	v_pack_b32_f16 v25, v26, v25
	ds_write_b32 v41, v25 offset:732
.LBB0_9:
	s_or_b64 exec, exec, s[2:3]
	s_waitcnt lgkmcnt(0)
	; wave barrier
	s_waitcnt lgkmcnt(0)
	ds_read2_b32 v[27:28], v31 offset1:27
	ds_read2_b32 v[25:26], v31 offset0:54 offset1:81
	ds_read2_b32 v[29:30], v31 offset0:108 offset1:135
	ds_read_b32 v52, v31 offset:648
	s_and_saveexec_b64 s[0:1], vcc
	s_cbranch_execz .LBB0_11
; %bb.10:
	ds_read2_b32 v[23:24], v41 offset0:21 offset1:48
	ds_read2_b32 v[3:4], v41 offset0:75 offset1:102
	;; [unrolled: 1-line block ×3, first 2 shown]
	ds_read_b32 v43, v41 offset:732
.LBB0_11:
	s_or_b64 exec, exec, s[0:1]
	s_waitcnt lgkmcnt(0)
	v_pk_add_f16 v53, v28, v52
	v_pk_add_f16 v54, v25, v30
	;; [unrolled: 1-line block ×3, first 2 shown]
	v_pk_add_f16 v28, v28, v52 neg_lo:[0,1] neg_hi:[0,1]
	v_pk_add_f16 v25, v25, v30 neg_lo:[0,1] neg_hi:[0,1]
	v_pk_add_f16 v56, v54, v53
	v_pk_add_f16 v26, v29, v26 neg_lo:[0,1] neg_hi:[0,1]
	v_pk_add_f16 v30, v53, v55 neg_lo:[0,1] neg_hi:[0,1]
	v_pk_add_f16 v57, v25, v28 neg_lo:[0,1] neg_hi:[0,1]
	s_movk_i32 s0, 0x3a52
	s_mov_b32 s3, 0xbb00
	v_pk_add_f16 v56, v55, v56
	v_pk_add_f16 v29, v54, v53 neg_lo:[0,1] neg_hi:[0,1]
	v_pk_add_f16 v52, v26, v25
	v_pk_add_f16 v53, v28, v26 neg_lo:[0,1] neg_hi:[0,1]
	v_pk_mul_f16 v30, v30, s0 op_sel_hi:[1,0]
	s_movk_i32 s2, 0x39e0
	s_mov_b32 s0, 0xb574
	v_pk_mul_f16 v57, v57, s3 op_sel_hi:[1,0]
	v_pk_add_f16 v27, v27, v56
	v_pk_add_f16 v28, v52, v28
	v_pk_mul_f16 v29, v29, s2 op_sel_hi:[1,0]
	v_pk_mul_f16 v52, v53, s0 op_sel_hi:[1,0]
	v_pk_fma_f16 v53, v53, s0, v57 op_sel_hi:[1,0,1] neg_lo:[1,0,1] neg_hi:[1,0,1]
	s_mov_b32 s12, 0xbcab
	v_pk_add_f16 v54, v55, v54 neg_lo:[0,1] neg_hi:[0,1]
	v_pk_add_f16 v25, v26, v25 neg_lo:[0,1] neg_hi:[0,1]
	s_movk_i32 s0, 0x2b26
	s_movk_i32 s1, 0x3846
	v_pk_add_f16 v58, v30, v29 op_sel:[1,1] op_sel_hi:[0,0] neg_lo:[1,1] neg_hi:[1,1]
	s_mov_b32 s4, 0xb70e
	v_pk_fma_f16 v56, v56, s12, v27 op_sel_hi:[1,0,1]
	v_pk_fma_f16 v26, v54, s0, v29 op_sel_hi:[1,0,1] neg_lo:[1,0,0] neg_hi:[1,0,0]
	v_pk_fma_f16 v29, v25, s1, v57 op_sel_hi:[1,0,1] neg_lo:[1,0,0] neg_hi:[1,0,0]
	v_pk_fma_f16 v53, v28, s4, v53 op_sel_hi:[1,0,1]
	v_pk_add_f16 v58, v58, v56 op_sel:[0,1] op_sel_hi:[1,0]
	v_pk_fma_f16 v29, v28, s4, v29 op_sel_hi:[1,0,1]
	v_pk_add_f16 v26, v26, v56
	v_pk_add_f16 v59, v58, v53
	v_pk_add_f16 v53, v58, v53 neg_lo:[0,1] neg_hi:[0,1]
	v_pk_add_f16 v55, v26, v29 op_sel:[0,1] op_sel_hi:[1,0] neg_lo:[0,1] neg_hi:[0,1]
	v_pk_add_f16 v26, v26, v29 op_sel:[0,1] op_sel_hi:[1,0]
	s_mov_b32 s5, 0xffff
	v_alignbit_b32 v58, v53, v59, 16
	v_bfi_b32 v29, s5, v55, v26
	s_waitcnt lgkmcnt(0)
	; wave barrier
	ds_write2_b32 v44, v58, v29 offset0:2 offset1:3
	v_bfi_b32 v26, s5, v26, v55
	v_alignbit_b32 v29, v59, v53, 16
	ds_write2_b32 v44, v26, v29 offset0:4 offset1:5
	v_pk_fma_f16 v26, v54, s0, v30 op_sel_hi:[1,0,1]
	v_pk_fma_f16 v25, v25, s1, v52 op_sel_hi:[1,0,1]
	;; [unrolled: 1-line block ×3, first 2 shown]
	v_pk_add_f16 v26, v26, v56
	v_pk_add_f16 v28, v26, v25 op_sel:[0,1] op_sel_hi:[1,0]
	v_pk_add_f16 v25, v26, v25 op_sel:[0,1] op_sel_hi:[1,0] neg_lo:[0,1] neg_hi:[0,1]
	v_add_u32_e32 v51, 0x54, v31
	v_add_u32_e32 v50, 0xa8, v31
	v_bfi_b32 v26, s5, v25, v28
	v_bfi_b32 v25, s5, v28, v25
	ds_write2_b32 v44, v27, v25 offset1:1
	ds_write_b32 v44, v26 offset:24
	s_and_saveexec_b64 s[0:1], vcc
	s_cbranch_execz .LBB0_13
; %bb.12:
	v_pk_add_f16 v25, v43, v24
	v_pk_add_f16 v27, v6, v3
	;; [unrolled: 1-line block ×4, first 2 shown]
	v_lshl_add_u32 v28, v45, 2, v42
	v_pk_add_f16 v29, v26, v29
	v_bfi_b32 v30, s5, v25, v26
	v_bfi_b32 v42, s5, v26, v27
	;; [unrolled: 1-line block ×4, first 2 shown]
	v_pk_add_f16 v24, v24, v43 neg_lo:[0,1] neg_hi:[0,1]
	v_pk_add_f16 v4, v5, v4 neg_lo:[0,1] neg_hi:[0,1]
	v_pk_add_f16 v3, v3, v6 neg_lo:[0,1] neg_hi:[0,1]
	v_pk_add_f16 v26, v44, v26 neg_lo:[0,1] neg_hi:[0,1]
	s_mov_b32 s14, 0x3a522b26
	v_alignbit_b32 v43, v24, v4, 16
	v_alignbit_b32 v44, v4, v3, 16
	v_pk_add_f16 v30, v30, v42 neg_lo:[0,1] neg_hi:[0,1]
	s_mov_b32 s13, 0x2b263a52
	v_pk_mul_f16 v26, v26, s14
	v_alignbit_b32 v5, v4, v24, 16
	v_alignbit_b32 v6, v3, v4, 16
	v_pk_add_f16 v43, v43, v44 neg_lo:[0,1] neg_hi:[0,1]
	s_mov_b32 s14, 0xb5743846
	v_pk_add_f16 v4, v4, v3
	v_pk_add_f16 v23, v23, v29
	v_pk_mul_f16 v42, v30, s13
	v_pk_fma_f16 v30, v30, s13, v26
	v_pk_add_f16 v5, v5, v6 neg_lo:[0,1] neg_hi:[0,1]
	s_mov_b32 s13, 0x3846b574
	v_pk_mul_f16 v43, v43, s14
	v_pk_add_f16 v4, v4, v24
	v_pk_mul_f16 v6, v5, s13
	v_pk_fma_f16 v5, v5, s13, v43
	v_pk_mul_f16 v44, v4, s4 op_sel_hi:[1,0]
	v_pk_fma_f16 v29, v29, s12, v23 op_sel_hi:[1,0,1]
	v_pk_add_f16 v5, v44, v5 op_sel:[1,0] op_sel_hi:[0,1]
	v_pk_add_f16 v30, v30, v29
	v_pk_add_f16 v44, v30, v5
	v_pk_add_f16 v5, v30, v5 neg_lo:[0,1] neg_hi:[0,1]
	v_pk_add_f16 v3, v3, v24 neg_lo:[0,1] neg_hi:[0,1]
	v_alignbit_b32 v24, v6, v43, 16
	v_alignbit_b32 v6, v43, v6, 16
	v_bfi_b32 v30, s5, v44, v5
	v_pk_fma_f16 v24, v3, s3, v24 op_sel_hi:[1,0,1] neg_lo:[1,0,1] neg_hi:[1,0,1]
	v_pk_fma_f16 v3, v3, s3, v6 op_sel_hi:[1,0,1] neg_lo:[0,0,1] neg_hi:[0,0,1]
	ds_write2_b32 v28, v23, v30 offset1:1
	v_pk_add_f16 v23, v27, v25 neg_lo:[0,1] neg_hi:[0,1]
	v_bfi_b32 v25, s5, v42, v26
	v_pk_fma_f16 v24, v4, s4, v24 op_sel_hi:[1,0,1]
	v_pk_fma_f16 v3, v4, s4, v3 op_sel_hi:[1,0,1]
	v_bfi_b32 v4, s5, v26, v42
	v_pk_fma_f16 v25, v23, s2, v25 op_sel_hi:[1,0,1] neg_lo:[1,0,1] neg_hi:[1,0,1]
	v_pk_fma_f16 v4, v23, s2, v4 op_sel_hi:[1,0,1] neg_lo:[0,0,1] neg_hi:[0,0,1]
	v_pk_add_f16 v25, v25, v29
	v_pk_add_f16 v4, v4, v29
	v_pk_add_f16 v27, v25, v24 op_sel:[0,1] op_sel_hi:[1,0]
	v_pk_add_f16 v24, v25, v24 op_sel:[0,1] op_sel_hi:[1,0] neg_lo:[0,1] neg_hi:[0,1]
	v_pk_add_f16 v6, v4, v3 op_sel:[0,1] op_sel_hi:[1,0] neg_lo:[0,1] neg_hi:[0,1]
	v_pk_add_f16 v3, v4, v3 op_sel:[0,1] op_sel_hi:[1,0]
	v_bfi_b32 v25, s5, v27, v24
	v_bfi_b32 v4, s5, v6, v3
	ds_write2_b32 v28, v25, v4 offset0:2 offset1:3
	v_bfi_b32 v3, s5, v3, v6
	v_bfi_b32 v4, s5, v24, v27
	ds_write2_b32 v28, v3, v4 offset0:4 offset1:5
	v_bfi_b32 v3, s5, v5, v44
	ds_write_b32 v28, v3 offset:24
.LBB0_13:
	s_or_b64 exec, exec, s[0:1]
	s_waitcnt lgkmcnt(0)
	; wave barrier
	s_waitcnt lgkmcnt(0)
	ds_read2_b32 v[3:4], v31 offset1:21
	ds_read2_b32 v[5:6], v31 offset0:42 offset1:63
	ds_read2_b32 v[23:24], v31 offset0:126 offset1:147
	;; [unrolled: 1-line block ×3, first 2 shown]
	ds_read_b32 v42, v31 offset:672
	s_waitcnt lgkmcnt(4)
	v_lshrrev_b32_e32 v27, 16, v3
	s_waitcnt lgkmcnt(3)
	v_lshrrev_b32_e32 v28, 16, v6
	v_mul_f16_sdwa v54, v11, v28 dst_sel:DWORD dst_unused:UNUSED_PAD src0_sel:WORD_1 src1_sel:DWORD
	s_waitcnt lgkmcnt(2)
	v_lshrrev_b32_e32 v29, 16, v23
	v_fma_f16 v54, v11, v6, v54
	v_mul_f16_sdwa v6, v11, v6 dst_sel:DWORD dst_unused:UNUSED_PAD src0_sel:WORD_1 src1_sel:DWORD
	v_fma_f16 v6, v11, v28, -v6
	v_mul_f16_sdwa v11, v12, v29 dst_sel:DWORD dst_unused:UNUSED_PAD src0_sel:WORD_1 src1_sel:DWORD
	s_waitcnt lgkmcnt(1)
	v_lshrrev_b32_e32 v43, 16, v25
	v_fma_f16 v11, v12, v23, v11
	v_mul_f16_sdwa v23, v12, v23 dst_sel:DWORD dst_unused:UNUSED_PAD src0_sel:WORD_1 src1_sel:DWORD
	v_fma_f16 v12, v12, v29, -v23
	v_mul_f16_sdwa v23, v9, v43 dst_sel:DWORD dst_unused:UNUSED_PAD src0_sel:WORD_1 src1_sel:DWORD
	v_lshrrev_b32_e32 v44, 16, v24
	v_fma_f16 v23, v9, v25, v23
	v_mul_f16_sdwa v25, v9, v25 dst_sel:DWORD dst_unused:UNUSED_PAD src0_sel:WORD_1 src1_sel:DWORD
	v_fma_f16 v9, v9, v43, -v25
	v_mul_f16_sdwa v25, v10, v44 dst_sel:DWORD dst_unused:UNUSED_PAD src0_sel:WORD_1 src1_sel:DWORD
	;; [unrolled: 5-line block ×3, first 2 shown]
	s_waitcnt lgkmcnt(0)
	v_lshrrev_b32_e32 v53, 16, v42
	v_fma_f16 v24, v7, v26, v24
	v_mul_f16_sdwa v26, v7, v26 dst_sel:DWORD dst_unused:UNUSED_PAD src0_sel:WORD_1 src1_sel:DWORD
	v_fma_f16 v7, v7, v52, -v26
	v_mul_f16_sdwa v26, v8, v53 dst_sel:DWORD dst_unused:UNUSED_PAD src0_sel:WORD_1 src1_sel:DWORD
	v_mul_f16_sdwa v28, v8, v42 dst_sel:DWORD dst_unused:UNUSED_PAD src0_sel:WORD_1 src1_sel:DWORD
	v_add_f16_e32 v29, v54, v11
	v_fma_f16 v26, v8, v42, v26
	v_fma_f16 v8, v8, v53, -v28
	v_add_f16_e32 v28, v3, v54
	v_fma_f16 v3, v29, -0.5, v3
	v_sub_f16_e32 v29, v6, v12
	s_mov_b32 s0, 0xbaee
	s_movk_i32 s1, 0x3aee
	v_fma_f16 v42, v29, s0, v3
	v_fma_f16 v3, v29, s1, v3
	v_add_f16_e32 v29, v27, v6
	v_add_f16_e32 v6, v6, v12
	;; [unrolled: 1-line block ×3, first 2 shown]
	v_fma_f16 v6, v6, -0.5, v27
	v_sub_f16_e32 v11, v54, v11
	v_add_f16_e32 v27, v23, v25
	v_lshrrev_b32_e32 v30, 16, v4
	v_add_f16_e32 v29, v29, v12
	v_fma_f16 v12, v11, s1, v6
	v_fma_f16 v6, v11, s0, v6
	v_add_f16_e32 v11, v4, v23
	v_fma_f16 v4, v27, -0.5, v4
	v_sub_f16_e32 v27, v9, v10
	v_fma_f16 v43, v27, s0, v4
	v_fma_f16 v4, v27, s1, v4
	v_add_f16_e32 v27, v30, v9
	v_add_f16_e32 v9, v9, v10
	;; [unrolled: 1-line block ×4, first 2 shown]
	v_fma_f16 v9, v9, -0.5, v30
	v_sub_f16_e32 v10, v23, v25
	v_add_f16_e32 v25, v24, v26
	v_lshrrev_b32_e32 v45, 16, v5
	v_fma_f16 v23, v10, s1, v9
	v_fma_f16 v9, v10, s0, v9
	v_add_f16_e32 v10, v5, v24
	v_fma_f16 v5, v25, -0.5, v5
	v_sub_f16_e32 v25, v7, v8
	v_fma_f16 v30, v25, s0, v5
	v_fma_f16 v5, v25, s1, v5
	v_add_f16_e32 v25, v45, v7
	v_add_f16_e32 v7, v7, v8
	;; [unrolled: 1-line block ×3, first 2 shown]
	v_fma_f16 v7, v7, -0.5, v45
	v_sub_f16_e32 v8, v24, v26
	v_pack_b32_f16 v3, v3, v6
	v_fma_f16 v24, v8, s1, v7
	v_fma_f16 v7, v8, s0, v7
	s_waitcnt lgkmcnt(0)
	; wave barrier
	v_pack_b32_f16 v8, v28, v29
	v_pack_b32_f16 v12, v42, v12
	ds_write_b32 v46, v3 offset:56
	v_pack_b32_f16 v3, v11, v27
	v_pack_b32_f16 v6, v43, v23
	v_add_f16_e32 v10, v10, v26
	ds_write2_b32 v46, v8, v12 offset1:7
	ds_write2_b32 v47, v3, v6 offset1:7
	v_pack_b32_f16 v3, v4, v9
	ds_write_b32 v47, v3 offset:56
	v_pack_b32_f16 v3, v10, v25
	v_pack_b32_f16 v4, v30, v24
	ds_write2_b32 v48, v3, v4 offset1:7
	v_pack_b32_f16 v3, v5, v7
	ds_write_b32 v48, v3 offset:56
	s_waitcnt lgkmcnt(0)
	; wave barrier
	s_waitcnt lgkmcnt(0)
	ds_read2_b32 v[3:4], v31 offset1:21
	ds_read2_b32 v[5:6], v31 offset0:42 offset1:63
	ds_read2_b32 v[7:8], v31 offset0:126 offset1:147
	;; [unrolled: 1-line block ×3, first 2 shown]
	ds_read_b32 v25, v31 offset:672
	s_waitcnt lgkmcnt(4)
	v_lshrrev_b32_e32 v11, 16, v3
	s_waitcnt lgkmcnt(3)
	v_lshrrev_b32_e32 v12, 16, v6
	v_mul_f16_sdwa v42, v13, v12 dst_sel:DWORD dst_unused:UNUSED_PAD src0_sel:WORD_1 src1_sel:DWORD
	s_waitcnt lgkmcnt(2)
	v_lshrrev_b32_e32 v23, 16, v7
	v_fma_f16 v42, v13, v6, v42
	v_mul_f16_sdwa v6, v13, v6 dst_sel:DWORD dst_unused:UNUSED_PAD src0_sel:WORD_1 src1_sel:DWORD
	v_fma_f16 v6, v13, v12, -v6
	v_mul_f16_sdwa v12, v14, v23 dst_sel:DWORD dst_unused:UNUSED_PAD src0_sel:WORD_1 src1_sel:DWORD
	s_waitcnt lgkmcnt(1)
	v_lshrrev_b32_e32 v26, 16, v9
	v_fma_f16 v12, v14, v7, v12
	v_mul_f16_sdwa v7, v14, v7 dst_sel:DWORD dst_unused:UNUSED_PAD src0_sel:WORD_1 src1_sel:DWORD
	v_fma_f16 v7, v14, v23, -v7
	v_mul_f16_sdwa v23, v13, v26 dst_sel:DWORD dst_unused:UNUSED_PAD src0_sel:WORD_1 src1_sel:DWORD
	v_lshrrev_b32_e32 v27, 16, v8
	v_fma_f16 v23, v13, v9, v23
	v_mul_f16_sdwa v9, v13, v9 dst_sel:DWORD dst_unused:UNUSED_PAD src0_sel:WORD_1 src1_sel:DWORD
	v_fma_f16 v9, v13, v26, -v9
	v_mul_f16_sdwa v13, v14, v27 dst_sel:DWORD dst_unused:UNUSED_PAD src0_sel:WORD_1 src1_sel:DWORD
	;; [unrolled: 5-line block ×3, first 2 shown]
	s_waitcnt lgkmcnt(0)
	v_lshrrev_b32_e32 v30, 16, v25
	v_fma_f16 v14, v15, v10, v14
	v_mul_f16_sdwa v10, v15, v10 dst_sel:DWORD dst_unused:UNUSED_PAD src0_sel:WORD_1 src1_sel:DWORD
	v_fma_f16 v10, v15, v29, -v10
	v_mul_f16_sdwa v15, v16, v30 dst_sel:DWORD dst_unused:UNUSED_PAD src0_sel:WORD_1 src1_sel:DWORD
	v_fma_f16 v15, v16, v25, v15
	v_mul_f16_sdwa v25, v16, v25 dst_sel:DWORD dst_unused:UNUSED_PAD src0_sel:WORD_1 src1_sel:DWORD
	v_add_f16_e32 v26, v42, v12
	v_fma_f16 v16, v16, v30, -v25
	v_add_f16_e32 v25, v3, v42
	v_fma_f16 v3, v26, -0.5, v3
	v_sub_f16_e32 v26, v6, v7
	v_fma_f16 v27, v26, s0, v3
	v_fma_f16 v3, v26, s1, v3
	v_add_f16_e32 v26, v11, v6
	v_add_f16_e32 v6, v6, v7
	;; [unrolled: 1-line block ×4, first 2 shown]
	v_fma_f16 v6, v6, -0.5, v11
	v_sub_f16_e32 v7, v42, v12
	v_add_f16_e32 v12, v23, v13
	v_lshrrev_b32_e32 v24, 16, v4
	v_fma_f16 v11, v7, s1, v6
	v_fma_f16 v6, v7, s0, v6
	v_add_f16_e32 v7, v4, v23
	v_fma_f16 v4, v12, -0.5, v4
	v_sub_f16_e32 v12, v9, v8
	v_fma_f16 v29, v12, s0, v4
	v_fma_f16 v4, v12, s1, v4
	v_add_f16_e32 v12, v24, v9
	v_add_f16_e32 v12, v12, v8
	;; [unrolled: 1-line block ×3, first 2 shown]
	v_fma_f16 v8, v8, -0.5, v24
	v_sub_f16_e32 v9, v23, v13
	v_add_f16_e32 v23, v14, v15
	v_lshrrev_b32_e32 v28, 16, v5
	v_add_f16_e32 v7, v7, v13
	v_fma_f16 v13, v9, s1, v8
	v_fma_f16 v8, v9, s0, v8
	v_add_f16_e32 v9, v5, v14
	v_fma_f16 v5, v23, -0.5, v5
	v_sub_f16_e32 v23, v10, v16
	v_fma_f16 v24, v23, s0, v5
	v_fma_f16 v5, v23, s1, v5
	v_add_f16_e32 v23, v28, v10
	v_add_f16_e32 v10, v10, v16
	v_fma_f16 v10, v10, -0.5, v28
	v_sub_f16_e32 v14, v14, v15
	v_pack_b32_f16 v3, v3, v6
	v_pack_b32_f16 v6, v7, v12
	v_add_f16_e32 v9, v9, v15
	v_add_f16_e32 v23, v23, v16
	v_fma_f16 v15, v14, s1, v10
	s_waitcnt lgkmcnt(0)
	; wave barrier
	ds_write2_b32 v31, v3, v6 offset0:42 offset1:63
	v_pack_b32_f16 v3, v29, v13
	v_pack_b32_f16 v4, v4, v8
	v_fma_f16 v10, v14, s0, v10
	v_pack_b32_f16 v14, v25, v26
	v_pack_b32_f16 v11, v27, v11
	ds_write2_b32 v31, v3, v4 offset0:84 offset1:105
	v_pack_b32_f16 v3, v9, v23
	v_pack_b32_f16 v4, v24, v15
	ds_write2_b32 v31, v14, v11 offset1:21
	ds_write2_b32 v49, v3, v4 offset0:126 offset1:147
	v_pack_b32_f16 v3, v5, v10
	ds_write_b32 v49, v3 offset:672
	s_waitcnt lgkmcnt(0)
	; wave barrier
	s_waitcnt lgkmcnt(0)
	ds_read2_b32 v[3:4], v31 offset1:21
	ds_read2_b32 v[5:6], v31 offset0:42 offset1:63
	ds_read2_b32 v[7:8], v31 offset0:126 offset1:147
	;; [unrolled: 1-line block ×3, first 2 shown]
	ds_read_b32 v15, v31 offset:672
	s_waitcnt lgkmcnt(4)
	v_lshrrev_b32_e32 v11, 16, v3
	s_waitcnt lgkmcnt(3)
	v_lshrrev_b32_e32 v12, 16, v6
	v_mul_f16_sdwa v27, v19, v12 dst_sel:DWORD dst_unused:UNUSED_PAD src0_sel:WORD_1 src1_sel:DWORD
	s_waitcnt lgkmcnt(2)
	v_lshrrev_b32_e32 v13, 16, v7
	s_waitcnt lgkmcnt(1)
	v_lshrrev_b32_e32 v25, 16, v10
	v_fma_f16 v27, v19, v6, v27
	v_mul_f16_sdwa v6, v19, v6 dst_sel:DWORD dst_unused:UNUSED_PAD src0_sel:WORD_1 src1_sel:DWORD
	v_fma_f16 v6, v19, v12, -v6
	v_mul_f16_sdwa v12, v20, v13 dst_sel:DWORD dst_unused:UNUSED_PAD src0_sel:WORD_1 src1_sel:DWORD
	v_mul_f16_sdwa v19, v17, v25 dst_sel:DWORD dst_unused:UNUSED_PAD src0_sel:WORD_1 src1_sel:DWORD
	v_lshrrev_b32_e32 v16, 16, v9
	s_waitcnt lgkmcnt(0)
	v_lshrrev_b32_e32 v26, 16, v15
	v_fma_f16 v12, v20, v7, v12
	v_mul_f16_sdwa v7, v20, v7 dst_sel:DWORD dst_unused:UNUSED_PAD src0_sel:WORD_1 src1_sel:DWORD
	v_fma_f16 v19, v17, v10, v19
	v_mul_f16_sdwa v10, v17, v10 dst_sel:DWORD dst_unused:UNUSED_PAD src0_sel:WORD_1 src1_sel:DWORD
	v_fma_f16 v7, v20, v13, -v7
	v_mul_f16_sdwa v13, v21, v16 dst_sel:DWORD dst_unused:UNUSED_PAD src0_sel:WORD_1 src1_sel:DWORD
	v_fma_f16 v10, v17, v25, -v10
	v_mul_f16_sdwa v17, v18, v26 dst_sel:DWORD dst_unused:UNUSED_PAD src0_sel:WORD_1 src1_sel:DWORD
	v_lshrrev_b32_e32 v23, 16, v8
	v_fma_f16 v13, v21, v9, v13
	v_mul_f16_sdwa v9, v21, v9 dst_sel:DWORD dst_unused:UNUSED_PAD src0_sel:WORD_1 src1_sel:DWORD
	v_fma_f16 v17, v18, v15, v17
	v_mul_f16_sdwa v15, v18, v15 dst_sel:DWORD dst_unused:UNUSED_PAD src0_sel:WORD_1 src1_sel:DWORD
	v_add_f16_e32 v20, v27, v12
	v_fma_f16 v9, v21, v16, -v9
	v_mul_f16_sdwa v16, v22, v23 dst_sel:DWORD dst_unused:UNUSED_PAD src0_sel:WORD_1 src1_sel:DWORD
	v_fma_f16 v15, v18, v26, -v15
	v_add_f16_e32 v18, v3, v27
	v_fma_f16 v3, v20, -0.5, v3
	v_sub_f16_e32 v20, v6, v7
	v_fma_f16 v16, v22, v8, v16
	v_mul_f16_sdwa v8, v22, v8 dst_sel:DWORD dst_unused:UNUSED_PAD src0_sel:WORD_1 src1_sel:DWORD
	v_fma_f16 v21, v20, s0, v3
	v_fma_f16 v3, v20, s1, v3
	v_add_f16_e32 v20, v11, v6
	v_add_f16_e32 v6, v6, v7
	v_fma_f16 v8, v22, v23, -v8
	v_add_f16_e32 v18, v18, v12
	v_add_f16_e32 v20, v20, v7
	v_fma_f16 v6, v6, -0.5, v11
	v_sub_f16_e32 v7, v27, v12
	v_add_f16_e32 v12, v13, v16
	v_lshrrev_b32_e32 v14, 16, v4
	v_fma_f16 v11, v7, s1, v6
	v_fma_f16 v6, v7, s0, v6
	v_add_f16_e32 v7, v4, v13
	v_fma_f16 v4, v12, -0.5, v4
	v_sub_f16_e32 v12, v9, v8
	v_fma_f16 v22, v12, s0, v4
	v_fma_f16 v4, v12, s1, v4
	v_add_f16_e32 v12, v14, v9
	v_add_f16_e32 v12, v12, v8
	v_add_f16_e32 v8, v9, v8
	v_fma_f16 v8, v8, -0.5, v14
	v_sub_f16_e32 v9, v13, v16
	v_add_f16_e32 v14, v19, v17
	v_lshrrev_b32_e32 v24, 16, v5
	v_fma_f16 v13, v9, s1, v8
	v_fma_f16 v8, v9, s0, v8
	v_add_f16_e32 v9, v5, v19
	v_fma_f16 v5, v14, -0.5, v5
	v_sub_f16_e32 v14, v10, v15
	v_add_f16_e32 v7, v7, v16
	v_fma_f16 v16, v14, s0, v5
	v_fma_f16 v5, v14, s1, v5
	v_add_f16_e32 v14, v24, v10
	v_add_f16_e32 v10, v10, v15
	;; [unrolled: 1-line block ×3, first 2 shown]
	v_fma_f16 v10, v10, -0.5, v24
	v_sub_f16_e32 v15, v19, v17
	v_add_f16_e32 v9, v9, v17
	v_fma_f16 v17, v15, s1, v10
	v_fma_f16 v10, v15, s0, v10
	v_pack_b32_f16 v15, v18, v20
	v_pack_b32_f16 v11, v21, v11
	;; [unrolled: 1-line block ×3, first 2 shown]
	ds_write_b32 v31, v15
	ds_write2_b32 v41, v11, v3 offset0:63 offset1:126
	v_pack_b32_f16 v3, v7, v12
	ds_write_b32 v41, v3 offset:84
	v_pack_b32_f16 v3, v22, v13
	v_pack_b32_f16 v4, v4, v8
	ds_write2_b32 v51, v3, v4 offset0:63 offset1:126
	v_pack_b32_f16 v3, v9, v14
	ds_write_b32 v41, v3 offset:168
	v_pack_b32_f16 v3, v16, v17
	v_pack_b32_f16 v4, v5, v10
	ds_write2_b32 v50, v3, v4 offset0:63 offset1:126
	s_waitcnt lgkmcnt(0)
	; wave barrier
	s_waitcnt lgkmcnt(0)
	ds_read2_b32 v[3:4], v31 offset1:27
	s_mov_b32 s12, 0x6b015ac0
	s_mov_b32 s13, 0x3f75ac05
	v_mad_u64_u32 v[7:8], s[0:1], s10, v2, 0
	s_waitcnt lgkmcnt(0)
	v_lshrrev_b32_e32 v11, 16, v3
	v_mul_f16_sdwa v5, v40, v11 dst_sel:DWORD dst_unused:UNUSED_PAD src0_sel:WORD_1 src1_sel:DWORD
	v_fma_f16 v5, v40, v3, v5
	v_cvt_f32_f16_e32 v5, v5
	s_movk_i32 s10, 0x1ff
	v_mul_f16_sdwa v3, v40, v3 dst_sel:DWORD dst_unused:UNUSED_PAD src0_sel:WORD_1 src1_sel:DWORD
	v_fma_f16 v3, v40, v11, -v3
	v_cvt_f64_f32_e32 v[5:6], v5
	v_cvt_f32_f16_e32 v3, v3
	s_movk_i32 s14, 0x40f
	s_mov_b32 s15, 0x8000
	v_mul_f64 v[9:10], v[5:6], s[12:13]
	v_lshrrev_b32_e32 v13, 16, v4
	v_mad_u64_u32 v[5:6], s[0:1], s11, v2, v[8:9]
	v_and_or_b32 v2, v10, s10, v9
	v_cmp_ne_u32_e64 s[0:1], 0, v2
	v_mov_b32_e32 v8, v5
	v_cndmask_b32_e64 v2, 0, 1, s[0:1]
	v_lshrrev_b32_e32 v5, 8, v10
	s_movk_i32 s11, 0xffe
	v_bfe_u32 v6, v10, 20, 11
	v_and_or_b32 v5, v5, s11, v2
	v_sub_u32_e32 v9, 0x3f1, v6
	v_or_b32_e32 v2, 0x1000, v5
	v_med3_i32 v9, v9, 0, 13
	v_lshrrev_b32_e32 v12, v9, v2
	v_lshlrev_b32_e32 v9, v9, v12
	v_cmp_ne_u32_e64 s[0:1], v9, v2
	v_cndmask_b32_e64 v2, 0, 1, s[0:1]
	v_add_u32_e32 v9, 0xfffffc10, v6
	v_or_b32_e32 v2, v12, v2
	v_lshl_or_b32 v6, v9, 12, v5
	v_cmp_gt_i32_e64 s[0:1], 1, v9
	v_cndmask_b32_e64 v2, v6, v2, s[0:1]
	v_and_b32_e32 v6, 7, v2
	v_cmp_lt_i32_e64 s[0:1], 5, v6
	v_cmp_eq_u32_e64 s[2:3], 3, v6
	v_lshrrev_b32_e32 v2, 2, v2
	s_or_b64 s[0:1], s[2:3], s[0:1]
	v_addc_co_u32_e64 v11, s[0:1], 0, v2, s[0:1]
	v_cvt_f64_f32_e32 v[2:3], v3
	v_mov_b32_e32 v6, 0x7c00
	v_cmp_gt_i32_e64 s[0:1], 31, v9
	v_cndmask_b32_e64 v11, v6, v11, s[0:1]
	v_mul_f64 v[2:3], v[2:3], s[12:13]
	v_cmp_ne_u32_e64 s[0:1], 0, v5
	v_cndmask_b32_e64 v5, 0, 1, s[0:1]
	v_lshl_or_b32 v5, v5, 9, v6
	v_cmp_eq_u32_e64 s[0:1], s14, v9
	v_cndmask_b32_e64 v5, v11, v5, s[0:1]
	v_lshrrev_b32_e32 v9, 16, v10
	v_and_or_b32 v5, v9, s15, v5
	v_and_or_b32 v2, v3, s10, v2
	v_cmp_ne_u32_e64 s[0:1], 0, v2
	v_cndmask_b32_e64 v2, 0, 1, s[0:1]
	v_lshrrev_b32_e32 v9, 8, v3
	v_bfe_u32 v10, v3, 20, 11
	v_and_or_b32 v2, v9, s11, v2
	v_sub_u32_e32 v11, 0x3f1, v10
	v_or_b32_e32 v9, 0x1000, v2
	v_med3_i32 v11, v11, 0, 13
	v_lshrrev_b32_e32 v12, v11, v9
	v_lshlrev_b32_e32 v11, v11, v12
	v_cmp_ne_u32_e64 s[0:1], v11, v9
	v_cndmask_b32_e64 v9, 0, 1, s[0:1]
	v_add_u32_e32 v11, 0xfffffc10, v10
	v_or_b32_e32 v9, v12, v9
	v_lshl_or_b32 v10, v11, 12, v2
	v_cmp_gt_i32_e64 s[0:1], 1, v11
	v_cndmask_b32_e64 v9, v10, v9, s[0:1]
	v_and_b32_e32 v10, 7, v9
	v_cmp_lt_i32_e64 s[0:1], 5, v10
	v_cmp_eq_u32_e64 s[2:3], 3, v10
	v_lshrrev_b32_e32 v9, 2, v9
	s_or_b64 s[0:1], s[2:3], s[0:1]
	v_addc_co_u32_e64 v9, s[0:1], 0, v9, s[0:1]
	v_cmp_gt_i32_e64 s[0:1], 31, v11
	v_cndmask_b32_e64 v12, v6, v9, s[0:1]
	v_cmp_ne_u32_e64 s[0:1], 0, v2
	v_cndmask_b32_e64 v2, 0, 1, s[0:1]
	v_mad_u64_u32 v[9:10], s[0:1], s8, v38, 0
	v_lshl_or_b32 v2, v2, 9, v6
	v_cmp_eq_u32_e64 s[0:1], s14, v11
	v_cndmask_b32_e64 v11, v12, v2, s[0:1]
	v_mov_b32_e32 v2, v10
	v_lshrrev_b32_e32 v12, 16, v3
	v_mad_u64_u32 v[2:3], s[0:1], s9, v38, v[2:3]
	v_mul_f16_sdwa v3, v39, v13 dst_sel:DWORD dst_unused:UNUSED_PAD src0_sel:WORD_1 src1_sel:DWORD
	v_fma_f16 v3, v39, v4, v3
	v_cvt_f32_f16_e32 v3, v3
	v_mov_b32_e32 v10, v2
	v_lshlrev_b64 v[7:8], 2, v[7:8]
	v_and_or_b32 v11, v12, s15, v11
	v_cvt_f64_f32_e32 v[2:3], v3
	v_and_b32_e32 v5, 0xffff, v5
	v_lshl_or_b32 v5, v11, 16, v5
	v_mov_b32_e32 v11, s7
	v_mul_f64 v[2:3], v[2:3], s[12:13]
	v_add_co_u32_e64 v7, s[0:1], s6, v7
	v_lshlrev_b64 v[9:10], 2, v[9:10]
	v_addc_co_u32_e64 v8, s[0:1], v11, v8, s[0:1]
	v_add_co_u32_e64 v9, s[0:1], v7, v9
	v_addc_co_u32_e64 v10, s[0:1], v8, v10, s[0:1]
	v_and_or_b32 v2, v3, s10, v2
	v_cmp_ne_u32_e64 s[0:1], 0, v2
	global_store_dword v[9:10], v5, off
	v_cndmask_b32_e64 v2, 0, 1, s[0:1]
	v_lshrrev_b32_e32 v5, 8, v3
	v_bfe_u32 v11, v3, 20, 11
	v_and_or_b32 v2, v5, s11, v2
	v_sub_u32_e32 v12, 0x3f1, v11
	v_or_b32_e32 v5, 0x1000, v2
	v_med3_i32 v12, v12, 0, 13
	v_lshrrev_b32_e32 v14, v12, v5
	v_lshlrev_b32_e32 v12, v12, v14
	v_mul_f16_sdwa v4, v39, v4 dst_sel:DWORD dst_unused:UNUSED_PAD src0_sel:WORD_1 src1_sel:DWORD
	v_cmp_ne_u32_e64 s[0:1], v12, v5
	v_fma_f16 v4, v39, v13, -v4
	v_cndmask_b32_e64 v5, 0, 1, s[0:1]
	v_add_u32_e32 v11, 0xfffffc10, v11
	v_cvt_f32_f16_e32 v4, v4
	v_or_b32_e32 v5, v14, v5
	v_lshl_or_b32 v12, v11, 12, v2
	v_cmp_gt_i32_e64 s[0:1], 1, v11
	v_cndmask_b32_e64 v5, v12, v5, s[0:1]
	v_and_b32_e32 v12, 7, v5
	v_cmp_lt_i32_e64 s[0:1], 5, v12
	v_cmp_eq_u32_e64 s[2:3], 3, v12
	v_lshrrev_b32_e32 v12, 2, v5
	v_cvt_f64_f32_e32 v[4:5], v4
	s_or_b64 s[0:1], s[2:3], s[0:1]
	v_addc_co_u32_e64 v12, s[0:1], 0, v12, s[0:1]
	v_mul_f64 v[4:5], v[4:5], s[12:13]
	v_cmp_gt_i32_e64 s[0:1], 31, v11
	v_cndmask_b32_e64 v12, v6, v12, s[0:1]
	v_cmp_ne_u32_e64 s[0:1], 0, v2
	v_cndmask_b32_e64 v2, 0, 1, s[0:1]
	v_lshl_or_b32 v2, v2, 9, v6
	v_cmp_eq_u32_e64 s[0:1], s14, v11
	v_cndmask_b32_e64 v2, v12, v2, s[0:1]
	v_lshrrev_b32_e32 v3, 16, v3
	v_and_or_b32 v2, v3, s15, v2
	v_and_or_b32 v3, v5, s10, v4
	v_cmp_ne_u32_e64 s[0:1], 0, v3
	v_cndmask_b32_e64 v3, 0, 1, s[0:1]
	v_lshrrev_b32_e32 v4, 8, v5
	v_bfe_u32 v11, v5, 20, 11
	v_and_or_b32 v3, v4, s11, v3
	v_sub_u32_e32 v12, 0x3f1, v11
	v_or_b32_e32 v4, 0x1000, v3
	v_med3_i32 v12, v12, 0, 13
	v_lshrrev_b32_e32 v13, v12, v4
	v_lshlrev_b32_e32 v12, v12, v13
	v_cmp_ne_u32_e64 s[0:1], v12, v4
	v_cndmask_b32_e64 v4, 0, 1, s[0:1]
	v_add_u32_e32 v11, 0xfffffc10, v11
	v_or_b32_e32 v4, v13, v4
	v_lshl_or_b32 v12, v11, 12, v3
	v_cmp_gt_i32_e64 s[0:1], 1, v11
	v_cndmask_b32_e64 v4, v12, v4, s[0:1]
	v_and_b32_e32 v12, 7, v4
	v_cmp_lt_i32_e64 s[0:1], 5, v12
	v_cmp_eq_u32_e64 s[2:3], 3, v12
	v_lshrrev_b32_e32 v4, 2, v4
	s_or_b64 s[0:1], s[2:3], s[0:1]
	v_addc_co_u32_e64 v4, s[0:1], 0, v4, s[0:1]
	v_cmp_gt_i32_e64 s[0:1], 31, v11
	v_cndmask_b32_e64 v12, v6, v4, s[0:1]
	v_cmp_ne_u32_e64 s[0:1], 0, v3
	v_cndmask_b32_e64 v3, 0, 1, s[0:1]
	v_lshl_or_b32 v13, v3, 9, v6
	ds_read2_b32 v[3:4], v31 offset0:54 offset1:81
	v_cmp_eq_u32_e64 s[0:1], s14, v11
	v_cndmask_b32_e64 v11, v12, v13, s[0:1]
	v_lshrrev_b32_e32 v5, 16, v5
	v_and_or_b32 v5, v5, s15, v11
	s_waitcnt lgkmcnt(0)
	v_lshrrev_b32_e32 v13, 16, v3
	v_mul_f16_sdwa v11, v37, v13 dst_sel:DWORD dst_unused:UNUSED_PAD src0_sel:WORD_1 src1_sel:DWORD
	v_fma_f16 v11, v37, v3, v11
	v_cvt_f32_f16_e32 v11, v11
	s_mul_i32 s0, s9, 27
	s_mul_hi_u32 s1, s8, 27
	s_add_i32 s1, s1, s0
	v_cvt_f64_f32_e32 v[11:12], v11
	s_mul_i32 s0, s8, 27
	v_and_b32_e32 v2, 0xffff, v2
	s_lshl_b64 s[6:7], s[0:1], 2
	v_mul_f64 v[11:12], v[11:12], s[12:13]
	v_lshl_or_b32 v5, v5, 16, v2
	v_mov_b32_e32 v2, s7
	v_add_co_u32_e64 v9, s[0:1], s6, v9
	v_addc_co_u32_e64 v10, s[0:1], v10, v2, s[0:1]
	global_store_dword v[9:10], v5, off
	v_and_or_b32 v5, v12, s10, v11
	v_cmp_ne_u32_e64 s[0:1], 0, v5
	v_cndmask_b32_e64 v5, 0, 1, s[0:1]
	v_lshrrev_b32_e32 v11, 8, v12
	v_bfe_u32 v14, v12, 20, 11
	v_and_or_b32 v5, v11, s11, v5
	v_sub_u32_e32 v15, 0x3f1, v14
	v_or_b32_e32 v11, 0x1000, v5
	v_med3_i32 v15, v15, 0, 13
	v_lshrrev_b32_e32 v16, v15, v11
	v_lshlrev_b32_e32 v15, v15, v16
	v_mul_f16_sdwa v3, v37, v3 dst_sel:DWORD dst_unused:UNUSED_PAD src0_sel:WORD_1 src1_sel:DWORD
	v_cmp_ne_u32_e64 s[0:1], v15, v11
	v_fma_f16 v3, v37, v13, -v3
	v_cndmask_b32_e64 v11, 0, 1, s[0:1]
	v_add_u32_e32 v15, 0xfffffc10, v14
	v_cvt_f32_f16_e32 v3, v3
	v_or_b32_e32 v11, v16, v11
	v_lshl_or_b32 v14, v15, 12, v5
	v_cmp_gt_i32_e64 s[0:1], 1, v15
	v_cndmask_b32_e64 v11, v14, v11, s[0:1]
	v_and_b32_e32 v14, 7, v11
	v_cmp_lt_i32_e64 s[0:1], 5, v14
	v_cmp_eq_u32_e64 s[2:3], 3, v14
	v_cvt_f64_f32_e32 v[13:14], v3
	v_lshrrev_b32_e32 v11, 2, v11
	s_or_b64 s[0:1], s[2:3], s[0:1]
	v_addc_co_u32_e64 v3, s[0:1], 0, v11, s[0:1]
	v_mul_f64 v[13:14], v[13:14], s[12:13]
	v_cmp_gt_i32_e64 s[0:1], 31, v15
	v_cndmask_b32_e64 v3, v6, v3, s[0:1]
	v_cmp_ne_u32_e64 s[0:1], 0, v5
	v_cndmask_b32_e64 v5, 0, 1, s[0:1]
	v_lshl_or_b32 v5, v5, 9, v6
	v_cmp_eq_u32_e64 s[0:1], s14, v15
	v_cndmask_b32_e64 v3, v3, v5, s[0:1]
	v_lshrrev_b32_e32 v5, 16, v12
	v_and_or_b32 v3, v5, s15, v3
	v_and_or_b32 v5, v14, s10, v13
	v_cmp_ne_u32_e64 s[0:1], 0, v5
	v_cndmask_b32_e64 v5, 0, 1, s[0:1]
	v_lshrrev_b32_e32 v11, 8, v14
	v_bfe_u32 v12, v14, 20, 11
	v_and_or_b32 v5, v11, s11, v5
	v_sub_u32_e32 v13, 0x3f1, v12
	v_or_b32_e32 v11, 0x1000, v5
	v_med3_i32 v13, v13, 0, 13
	v_lshrrev_b32_e32 v15, v13, v11
	v_lshlrev_b32_e32 v13, v13, v15
	v_cmp_ne_u32_e64 s[0:1], v13, v11
	v_cndmask_b32_e64 v11, 0, 1, s[0:1]
	v_add_u32_e32 v13, 0xfffffc10, v12
	v_or_b32_e32 v11, v15, v11
	v_lshl_or_b32 v12, v13, 12, v5
	v_cmp_gt_i32_e64 s[0:1], 1, v13
	v_cndmask_b32_e64 v11, v12, v11, s[0:1]
	v_and_b32_e32 v12, 7, v11
	v_cmp_lt_i32_e64 s[0:1], 5, v12
	v_cmp_eq_u32_e64 s[2:3], 3, v12
	v_lshrrev_b32_e32 v11, 2, v11
	s_or_b64 s[0:1], s[2:3], s[0:1]
	v_addc_co_u32_e64 v11, s[0:1], 0, v11, s[0:1]
	v_cmp_gt_i32_e64 s[0:1], 31, v13
	v_lshrrev_b32_e32 v16, 16, v4
	v_cndmask_b32_e64 v15, v6, v11, s[0:1]
	v_mul_f16_sdwa v11, v36, v16 dst_sel:DWORD dst_unused:UNUSED_PAD src0_sel:WORD_1 src1_sel:DWORD
	v_fma_f16 v11, v36, v4, v11
	v_cvt_f32_f16_e32 v11, v11
	v_cmp_ne_u32_e64 s[0:1], 0, v5
	v_cndmask_b32_e64 v5, 0, 1, s[0:1]
	v_lshl_or_b32 v5, v5, 9, v6
	v_cvt_f64_f32_e32 v[11:12], v11
	v_cmp_eq_u32_e64 s[0:1], s14, v13
	v_cndmask_b32_e64 v5, v15, v5, s[0:1]
	v_lshrrev_b32_e32 v13, 16, v14
	v_mul_f64 v[11:12], v[11:12], s[12:13]
	v_and_or_b32 v5, v13, s15, v5
	v_and_b32_e32 v3, 0xffff, v3
	v_add_co_u32_e64 v9, s[0:1], s6, v9
	v_lshl_or_b32 v3, v5, 16, v3
	v_addc_co_u32_e64 v10, s[0:1], v10, v2, s[0:1]
	global_store_dword v[9:10], v3, off
	v_and_or_b32 v3, v12, s10, v11
	v_cmp_ne_u32_e64 s[0:1], 0, v3
	v_cndmask_b32_e64 v3, 0, 1, s[0:1]
	v_lshrrev_b32_e32 v5, 8, v12
	v_bfe_u32 v11, v12, 20, 11
	v_and_or_b32 v5, v5, s11, v3
	v_sub_u32_e32 v13, 0x3f1, v11
	v_or_b32_e32 v3, 0x1000, v5
	v_med3_i32 v13, v13, 0, 13
	v_lshrrev_b32_e32 v14, v13, v3
	v_lshlrev_b32_e32 v13, v13, v14
	v_mul_f16_sdwa v4, v36, v4 dst_sel:DWORD dst_unused:UNUSED_PAD src0_sel:WORD_1 src1_sel:DWORD
	v_cmp_ne_u32_e64 s[0:1], v13, v3
	v_fma_f16 v4, v36, v16, -v4
	v_cndmask_b32_e64 v3, 0, 1, s[0:1]
	v_add_u32_e32 v11, 0xfffffc10, v11
	v_cvt_f32_f16_e32 v4, v4
	v_or_b32_e32 v3, v14, v3
	v_lshl_or_b32 v13, v11, 12, v5
	v_cmp_gt_i32_e64 s[0:1], 1, v11
	v_cndmask_b32_e64 v3, v13, v3, s[0:1]
	v_and_b32_e32 v13, 7, v3
	v_cmp_lt_i32_e64 s[0:1], 5, v13
	v_cmp_eq_u32_e64 s[2:3], 3, v13
	v_lshrrev_b32_e32 v13, 2, v3
	v_cvt_f64_f32_e32 v[3:4], v4
	s_or_b64 s[0:1], s[2:3], s[0:1]
	v_addc_co_u32_e64 v13, s[0:1], 0, v13, s[0:1]
	v_mul_f64 v[3:4], v[3:4], s[12:13]
	v_cmp_gt_i32_e64 s[0:1], 31, v11
	v_cndmask_b32_e64 v13, v6, v13, s[0:1]
	v_cmp_ne_u32_e64 s[0:1], 0, v5
	v_cndmask_b32_e64 v5, 0, 1, s[0:1]
	v_lshl_or_b32 v5, v5, 9, v6
	v_cmp_eq_u32_e64 s[0:1], s14, v11
	v_cndmask_b32_e64 v5, v13, v5, s[0:1]
	v_and_or_b32 v3, v4, s10, v3
	v_lshrrev_b32_e32 v11, 16, v12
	v_cmp_ne_u32_e64 s[0:1], 0, v3
	v_and_or_b32 v5, v11, s15, v5
	v_cndmask_b32_e64 v3, 0, 1, s[0:1]
	v_lshrrev_b32_e32 v11, 8, v4
	v_bfe_u32 v12, v4, 20, 11
	v_and_or_b32 v3, v11, s11, v3
	v_sub_u32_e32 v13, 0x3f1, v12
	v_or_b32_e32 v11, 0x1000, v3
	v_med3_i32 v13, v13, 0, 13
	v_lshrrev_b32_e32 v14, v13, v11
	v_lshlrev_b32_e32 v13, v13, v14
	v_cmp_ne_u32_e64 s[0:1], v13, v11
	v_cndmask_b32_e64 v11, 0, 1, s[0:1]
	v_add_u32_e32 v15, 0xfffffc10, v12
	v_or_b32_e32 v11, v14, v11
	v_lshl_or_b32 v12, v15, 12, v3
	v_cmp_gt_i32_e64 s[0:1], 1, v15
	v_cndmask_b32_e64 v11, v12, v11, s[0:1]
	v_and_b32_e32 v12, 7, v11
	v_cmp_lt_i32_e64 s[0:1], 5, v12
	v_cmp_eq_u32_e64 s[2:3], 3, v12
	v_lshrrev_b32_e32 v13, 2, v11
	ds_read2_b32 v[11:12], v31 offset0:108 offset1:135
	s_or_b64 s[0:1], s[2:3], s[0:1]
	v_addc_co_u32_e64 v13, s[0:1], 0, v13, s[0:1]
	v_cmp_gt_i32_e64 s[0:1], 31, v15
	s_waitcnt lgkmcnt(0)
	v_lshrrev_b32_e32 v17, 16, v11
	v_cndmask_b32_e64 v16, v6, v13, s[0:1]
	v_mul_f16_sdwa v13, v35, v17 dst_sel:DWORD dst_unused:UNUSED_PAD src0_sel:WORD_1 src1_sel:DWORD
	v_fma_f16 v13, v35, v11, v13
	v_cvt_f32_f16_e32 v13, v13
	v_cmp_ne_u32_e64 s[0:1], 0, v3
	v_cndmask_b32_e64 v3, 0, 1, s[0:1]
	v_lshl_or_b32 v3, v3, 9, v6
	v_cvt_f64_f32_e32 v[13:14], v13
	v_cmp_eq_u32_e64 s[0:1], s14, v15
	v_cndmask_b32_e64 v3, v16, v3, s[0:1]
	v_lshrrev_b32_e32 v4, 16, v4
	v_and_or_b32 v15, v4, s15, v3
	v_mul_f64 v[3:4], v[13:14], s[12:13]
	v_add_co_u32_e64 v9, s[0:1], s6, v9
	v_and_b32_e32 v5, 0xffff, v5
	v_addc_co_u32_e64 v10, s[0:1], v10, v2, s[0:1]
	v_lshl_or_b32 v5, v15, 16, v5
	global_store_dword v[9:10], v5, off
	v_and_or_b32 v3, v4, s10, v3
	v_cmp_ne_u32_e64 s[0:1], 0, v3
	v_cndmask_b32_e64 v3, 0, 1, s[0:1]
	v_lshrrev_b32_e32 v5, 8, v4
	v_bfe_u32 v13, v4, 20, 11
	v_and_or_b32 v3, v5, s11, v3
	v_sub_u32_e32 v14, 0x3f1, v13
	v_or_b32_e32 v5, 0x1000, v3
	v_med3_i32 v14, v14, 0, 13
	v_lshrrev_b32_e32 v15, v14, v5
	v_lshlrev_b32_e32 v14, v14, v15
	v_cmp_ne_u32_e64 s[0:1], v14, v5
	v_mul_f16_sdwa v11, v35, v11 dst_sel:DWORD dst_unused:UNUSED_PAD src0_sel:WORD_1 src1_sel:DWORD
	v_cndmask_b32_e64 v5, 0, 1, s[0:1]
	v_fma_f16 v11, v35, v17, -v11
	v_or_b32_e32 v5, v15, v5
	v_add_u32_e32 v15, 0xfffffc10, v13
	v_cvt_f32_f16_e32 v11, v11
	v_lshl_or_b32 v13, v15, 12, v3
	v_cmp_gt_i32_e64 s[0:1], 1, v15
	v_cndmask_b32_e64 v5, v13, v5, s[0:1]
	v_and_b32_e32 v13, 7, v5
	v_cmp_lt_i32_e64 s[0:1], 5, v13
	v_cmp_eq_u32_e64 s[2:3], 3, v13
	v_cvt_f64_f32_e32 v[13:14], v11
	v_lshrrev_b32_e32 v5, 2, v5
	s_or_b64 s[0:1], s[2:3], s[0:1]
	v_addc_co_u32_e64 v5, s[0:1], 0, v5, s[0:1]
	v_mul_f64 v[13:14], v[13:14], s[12:13]
	v_cmp_gt_i32_e64 s[0:1], 31, v15
	v_cndmask_b32_e64 v5, v6, v5, s[0:1]
	v_cmp_ne_u32_e64 s[0:1], 0, v3
	v_cndmask_b32_e64 v3, 0, 1, s[0:1]
	v_lshl_or_b32 v3, v3, 9, v6
	v_cmp_eq_u32_e64 s[0:1], s14, v15
	v_cndmask_b32_e64 v3, v5, v3, s[0:1]
	v_lshrrev_b32_e32 v4, 16, v4
	v_and_or_b32 v5, v4, s15, v3
	v_and_or_b32 v3, v14, s10, v13
	v_cmp_ne_u32_e64 s[0:1], 0, v3
	v_cndmask_b32_e64 v3, 0, 1, s[0:1]
	v_lshrrev_b32_e32 v4, 8, v14
	v_bfe_u32 v11, v14, 20, 11
	v_and_or_b32 v3, v4, s11, v3
	v_sub_u32_e32 v13, 0x3f1, v11
	v_or_b32_e32 v4, 0x1000, v3
	v_med3_i32 v13, v13, 0, 13
	v_lshrrev_b32_e32 v15, v13, v4
	v_lshlrev_b32_e32 v13, v13, v15
	v_cmp_ne_u32_e64 s[0:1], v13, v4
	v_cndmask_b32_e64 v4, 0, 1, s[0:1]
	v_add_u32_e32 v11, 0xfffffc10, v11
	v_or_b32_e32 v4, v15, v4
	v_lshl_or_b32 v13, v11, 12, v3
	v_cmp_gt_i32_e64 s[0:1], 1, v11
	v_cndmask_b32_e64 v4, v13, v4, s[0:1]
	v_and_b32_e32 v13, 7, v4
	v_cmp_lt_i32_e64 s[0:1], 5, v13
	v_cmp_eq_u32_e64 s[2:3], 3, v13
	v_lshrrev_b32_e32 v4, 2, v4
	s_or_b64 s[0:1], s[2:3], s[0:1]
	v_addc_co_u32_e64 v4, s[0:1], 0, v4, s[0:1]
	v_cmp_gt_i32_e64 s[0:1], 31, v11
	v_lshrrev_b32_e32 v15, 16, v12
	v_cndmask_b32_e64 v13, v6, v4, s[0:1]
	v_mul_f16_sdwa v4, v34, v15 dst_sel:DWORD dst_unused:UNUSED_PAD src0_sel:WORD_1 src1_sel:DWORD
	v_fma_f16 v4, v34, v12, v4
	v_cvt_f32_f16_e32 v4, v4
	v_cmp_ne_u32_e64 s[0:1], 0, v3
	v_cndmask_b32_e64 v3, 0, 1, s[0:1]
	v_lshl_or_b32 v16, v3, 9, v6
	v_cvt_f64_f32_e32 v[3:4], v4
	v_cmp_eq_u32_e64 s[0:1], s14, v11
	v_cndmask_b32_e64 v11, v13, v16, s[0:1]
	v_lshrrev_b32_e32 v13, 16, v14
	v_mul_f64 v[3:4], v[3:4], s[12:13]
	v_add_co_u32_e64 v9, s[0:1], s6, v9
	v_and_or_b32 v11, v13, s15, v11
	v_and_b32_e32 v5, 0xffff, v5
	v_addc_co_u32_e64 v10, s[0:1], v10, v2, s[0:1]
	v_lshl_or_b32 v5, v11, 16, v5
	v_and_or_b32 v3, v4, s10, v3
	v_cmp_ne_u32_e64 s[0:1], 0, v3
	global_store_dword v[9:10], v5, off
	v_cndmask_b32_e64 v3, 0, 1, s[0:1]
	v_lshrrev_b32_e32 v5, 8, v4
	v_bfe_u32 v11, v4, 20, 11
	v_and_or_b32 v3, v5, s11, v3
	v_sub_u32_e32 v13, 0x3f1, v11
	v_or_b32_e32 v5, 0x1000, v3
	v_med3_i32 v13, v13, 0, 13
	v_lshrrev_b32_e32 v14, v13, v5
	v_lshlrev_b32_e32 v13, v13, v14
	v_mul_f16_sdwa v12, v34, v12 dst_sel:DWORD dst_unused:UNUSED_PAD src0_sel:WORD_1 src1_sel:DWORD
	v_cmp_ne_u32_e64 s[0:1], v13, v5
	v_fma_f16 v12, v34, v15, -v12
	v_cndmask_b32_e64 v5, 0, 1, s[0:1]
	v_add_u32_e32 v13, 0xfffffc10, v11
	v_cvt_f32_f16_e32 v12, v12
	v_or_b32_e32 v5, v14, v5
	v_lshl_or_b32 v11, v13, 12, v3
	v_cmp_gt_i32_e64 s[0:1], 1, v13
	v_cndmask_b32_e64 v5, v11, v5, s[0:1]
	v_and_b32_e32 v11, 7, v5
	v_cmp_lt_i32_e64 s[0:1], 5, v11
	v_cmp_eq_u32_e64 s[2:3], 3, v11
	v_cvt_f64_f32_e32 v[11:12], v12
	v_lshrrev_b32_e32 v5, 2, v5
	s_or_b64 s[0:1], s[2:3], s[0:1]
	v_addc_co_u32_e64 v5, s[0:1], 0, v5, s[0:1]
	v_mul_f64 v[11:12], v[11:12], s[12:13]
	v_cmp_gt_i32_e64 s[0:1], 31, v13
	v_cndmask_b32_e64 v5, v6, v5, s[0:1]
	v_cmp_ne_u32_e64 s[0:1], 0, v3
	v_cndmask_b32_e64 v3, 0, 1, s[0:1]
	v_lshl_or_b32 v3, v3, 9, v6
	v_cmp_eq_u32_e64 s[0:1], s14, v13
	v_cndmask_b32_e64 v3, v5, v3, s[0:1]
	v_lshrrev_b32_e32 v4, 16, v4
	v_and_or_b32 v5, v4, s15, v3
	v_and_or_b32 v3, v12, s10, v11
	v_cmp_ne_u32_e64 s[0:1], 0, v3
	v_cndmask_b32_e64 v3, 0, 1, s[0:1]
	v_lshrrev_b32_e32 v4, 8, v12
	v_bfe_u32 v11, v12, 20, 11
	v_and_or_b32 v3, v4, s11, v3
	v_sub_u32_e32 v13, 0x3f1, v11
	v_or_b32_e32 v4, 0x1000, v3
	v_med3_i32 v13, v13, 0, 13
	v_lshrrev_b32_e32 v14, v13, v4
	v_lshlrev_b32_e32 v13, v13, v14
	v_cmp_ne_u32_e64 s[0:1], v13, v4
	v_cndmask_b32_e64 v4, 0, 1, s[0:1]
	v_add_u32_e32 v11, 0xfffffc10, v11
	v_or_b32_e32 v4, v14, v4
	v_lshl_or_b32 v13, v11, 12, v3
	v_cmp_gt_i32_e64 s[0:1], 1, v11
	v_cndmask_b32_e64 v4, v13, v4, s[0:1]
	v_and_b32_e32 v13, 7, v4
	v_cmp_lt_i32_e64 s[0:1], 5, v13
	v_cmp_eq_u32_e64 s[2:3], 3, v13
	ds_read_b32 v13, v31 offset:648
	v_lshrrev_b32_e32 v4, 2, v4
	s_or_b64 s[0:1], s[2:3], s[0:1]
	v_addc_co_u32_e64 v4, s[0:1], 0, v4, s[0:1]
	v_cmp_gt_i32_e64 s[0:1], 31, v11
	s_waitcnt lgkmcnt(0)
	v_lshrrev_b32_e32 v15, 16, v13
	v_cndmask_b32_e64 v14, v6, v4, s[0:1]
	v_mul_f16_sdwa v4, v33, v15 dst_sel:DWORD dst_unused:UNUSED_PAD src0_sel:WORD_1 src1_sel:DWORD
	v_fma_f16 v4, v33, v13, v4
	v_cvt_f32_f16_e32 v4, v4
	v_cmp_ne_u32_e64 s[0:1], 0, v3
	v_cndmask_b32_e64 v3, 0, 1, s[0:1]
	v_lshl_or_b32 v16, v3, 9, v6
	v_cvt_f64_f32_e32 v[3:4], v4
	v_cmp_eq_u32_e64 s[0:1], s14, v11
	v_cndmask_b32_e64 v11, v14, v16, s[0:1]
	v_lshrrev_b32_e32 v12, 16, v12
	v_mul_f64 v[3:4], v[3:4], s[12:13]
	v_add_co_u32_e64 v9, s[0:1], s6, v9
	v_and_or_b32 v11, v12, s15, v11
	v_and_b32_e32 v5, 0xffff, v5
	v_addc_co_u32_e64 v10, s[0:1], v10, v2, s[0:1]
	v_lshl_or_b32 v5, v11, 16, v5
	v_and_or_b32 v3, v4, s10, v3
	v_cmp_ne_u32_e64 s[0:1], 0, v3
	global_store_dword v[9:10], v5, off
	v_cndmask_b32_e64 v3, 0, 1, s[0:1]
	v_lshrrev_b32_e32 v5, 8, v4
	v_bfe_u32 v11, v4, 20, 11
	v_and_or_b32 v3, v5, s11, v3
	v_sub_u32_e32 v12, 0x3f1, v11
	v_or_b32_e32 v5, 0x1000, v3
	v_med3_i32 v12, v12, 0, 13
	v_lshrrev_b32_e32 v14, v12, v5
	v_lshlrev_b32_e32 v12, v12, v14
	v_cmp_ne_u32_e64 s[0:1], v12, v5
	v_mul_f16_sdwa v12, v33, v13 dst_sel:DWORD dst_unused:UNUSED_PAD src0_sel:WORD_1 src1_sel:DWORD
	v_cndmask_b32_e64 v5, 0, 1, s[0:1]
	v_fma_f16 v12, v33, v15, -v12
	v_or_b32_e32 v5, v14, v5
	v_add_u32_e32 v14, 0xfffffc10, v11
	v_cvt_f32_f16_e32 v12, v12
	v_lshl_or_b32 v11, v14, 12, v3
	v_cmp_gt_i32_e64 s[0:1], 1, v14
	v_cndmask_b32_e64 v5, v11, v5, s[0:1]
	v_and_b32_e32 v11, 7, v5
	v_cmp_lt_i32_e64 s[0:1], 5, v11
	v_cmp_eq_u32_e64 s[2:3], 3, v11
	v_cvt_f64_f32_e32 v[11:12], v12
	v_lshrrev_b32_e32 v5, 2, v5
	s_or_b64 s[0:1], s[2:3], s[0:1]
	v_addc_co_u32_e64 v5, s[0:1], 0, v5, s[0:1]
	v_mul_f64 v[11:12], v[11:12], s[12:13]
	v_cmp_gt_i32_e64 s[0:1], 31, v14
	v_cndmask_b32_e64 v5, v6, v5, s[0:1]
	v_cmp_ne_u32_e64 s[0:1], 0, v3
	v_cndmask_b32_e64 v3, 0, 1, s[0:1]
	v_lshl_or_b32 v3, v3, 9, v6
	v_cmp_eq_u32_e64 s[0:1], s14, v14
	v_cndmask_b32_e64 v3, v5, v3, s[0:1]
	v_lshrrev_b32_e32 v4, 16, v4
	v_and_or_b32 v3, v4, s15, v3
	v_and_or_b32 v4, v12, s10, v11
	v_cmp_ne_u32_e64 s[0:1], 0, v4
	v_cndmask_b32_e64 v4, 0, 1, s[0:1]
	v_lshrrev_b32_e32 v5, 8, v12
	v_bfe_u32 v11, v12, 20, 11
	v_and_or_b32 v4, v5, s11, v4
	v_sub_u32_e32 v13, 0x3f1, v11
	v_or_b32_e32 v5, 0x1000, v4
	v_med3_i32 v13, v13, 0, 13
	v_lshrrev_b32_e32 v14, v13, v5
	v_lshlrev_b32_e32 v13, v13, v14
	v_cmp_ne_u32_e64 s[0:1], v13, v5
	v_cndmask_b32_e64 v5, 0, 1, s[0:1]
	v_add_u32_e32 v11, 0xfffffc10, v11
	v_or_b32_e32 v5, v14, v5
	v_lshl_or_b32 v13, v11, 12, v4
	v_cmp_gt_i32_e64 s[0:1], 1, v11
	v_cndmask_b32_e64 v5, v13, v5, s[0:1]
	v_and_b32_e32 v13, 7, v5
	v_cmp_lt_i32_e64 s[0:1], 5, v13
	v_cmp_eq_u32_e64 s[2:3], 3, v13
	v_lshrrev_b32_e32 v5, 2, v5
	s_or_b64 s[0:1], s[2:3], s[0:1]
	v_addc_co_u32_e64 v5, s[0:1], 0, v5, s[0:1]
	v_cmp_gt_i32_e64 s[0:1], 31, v11
	v_cndmask_b32_e64 v5, v6, v5, s[0:1]
	v_cmp_ne_u32_e64 s[0:1], 0, v4
	v_cndmask_b32_e64 v4, 0, 1, s[0:1]
	v_lshl_or_b32 v4, v4, 9, v6
	v_cmp_eq_u32_e64 s[0:1], s14, v11
	v_cndmask_b32_e64 v4, v5, v4, s[0:1]
	v_lshrrev_b32_e32 v5, 16, v12
	v_and_or_b32 v4, v5, s15, v4
	v_and_b32_e32 v3, 0xffff, v3
	v_lshl_or_b32 v3, v4, 16, v3
	v_add_co_u32_e64 v4, s[0:1], s6, v9
	v_addc_co_u32_e64 v5, s[0:1], v10, v2, s[0:1]
	global_store_dword v[4:5], v3, off
	s_and_b64 exec, exec, vcc
	s_cbranch_execz .LBB0_15
; %bb.14:
	global_load_dword v9, v[0:1], off offset:84
	global_load_dword v15, v[0:1], off offset:192
	ds_read_b32 v10, v41 offset:84
	ds_read2_b32 v[2:3], v31 offset0:48 offset1:75
	global_load_dword v16, v[0:1], off offset:300
	global_load_dword v17, v[0:1], off offset:408
	;; [unrolled: 1-line block ×4, first 2 shown]
	v_mov_b32_e32 v13, 0xfffffdcc
	v_mad_u64_u32 v[4:5], s[2:3], s8, v13, v[4:5]
	s_waitcnt lgkmcnt(1)
	v_lshrrev_b32_e32 v11, 16, v10
	s_waitcnt lgkmcnt(0)
	v_lshrrev_b32_e32 v20, 16, v2
	s_mul_i32 s0, s9, 0xfffffdcc
	s_sub_i32 s0, s0, s8
	v_add_u32_e32 v5, s0, v5
	s_waitcnt vmcnt(5)
	v_mul_f16_sdwa v12, v11, v9 dst_sel:DWORD dst_unused:UNUSED_PAD src0_sel:DWORD src1_sel:WORD_1
	v_mul_f16_sdwa v14, v10, v9 dst_sel:DWORD dst_unused:UNUSED_PAD src0_sel:DWORD src1_sel:WORD_1
	v_fma_f16 v10, v10, v9, v12
	v_cvt_f32_f16_e32 v10, v10
	s_waitcnt vmcnt(4)
	v_mul_f16_sdwa v12, v20, v15 dst_sel:DWORD dst_unused:UNUSED_PAD src0_sel:DWORD src1_sel:WORD_1
	v_fma_f16 v9, v9, v11, -v14
	v_cvt_f32_f16_e32 v11, v9
	v_fma_f16 v12, v2, v15, v12
	v_cvt_f32_f16_e32 v14, v12
	v_cvt_f64_f32_e32 v[9:10], v10
	v_cvt_f64_f32_e32 v[11:12], v11
	v_mul_f16_sdwa v2, v2, v15 dst_sel:DWORD dst_unused:UNUSED_PAD src0_sel:DWORD src1_sel:WORD_1
	v_cvt_f64_f32_e32 v[13:14], v14
	v_mul_f64 v[9:10], v[9:10], s[12:13]
	v_mul_f64 v[11:12], v[11:12], s[12:13]
	v_fma_f16 v2, v15, v20, -v2
	v_mul_f64 v[13:14], v[13:14], s[12:13]
	v_cvt_f32_f16_e32 v2, v2
	v_lshrrev_b32_e32 v20, 16, v3
	v_and_or_b32 v9, v10, s10, v9
	v_and_or_b32 v11, v12, s10, v11
	v_cmp_ne_u32_e32 vcc, 0, v9
	v_lshrrev_b32_e32 v21, 8, v10
	v_bfe_u32 v22, v10, 20, 11
	v_and_or_b32 v13, v14, s10, v13
	v_cndmask_b32_e64 v9, 0, 1, vcc
	v_cmp_ne_u32_e32 vcc, 0, v11
	v_lshrrev_b32_e32 v23, 8, v12
	v_bfe_u32 v24, v12, 20, 11
	v_bfe_u32 v26, v14, 20, 11
	v_sub_u32_e32 v27, 0x3f1, v22
	v_cndmask_b32_e64 v11, 0, 1, vcc
	v_cmp_ne_u32_e32 vcc, 0, v13
	v_and_or_b32 v9, v21, s11, v9
	v_lshrrev_b32_e32 v25, 8, v14
	v_sub_u32_e32 v28, 0x3f1, v24
	v_cndmask_b32_e64 v13, 0, 1, vcc
	v_sub_u32_e32 v29, 0x3f1, v26
	v_med3_i32 v21, v27, 0, 13
	v_and_or_b32 v11, v23, s11, v11
	v_or_b32_e32 v27, 0x1000, v9
	v_add_u32_e32 v22, 0xfffffc10, v22
	v_med3_i32 v23, v28, 0, 13
	v_and_or_b32 v13, v25, s11, v13
	v_med3_i32 v25, v29, 0, 13
	v_cmp_ne_u32_e32 vcc, 0, v9
	v_or_b32_e32 v29, 0x1000, v11
	v_lshrrev_b32_e32 v34, v21, v27
	v_add_u32_e32 v24, 0xfffffc10, v24
	v_lshl_or_b32 v28, v22, 12, v9
	v_cndmask_b32_e64 v9, 0, 1, vcc
	v_cmp_ne_u32_e32 vcc, 0, v11
	v_or_b32_e32 v33, 0x1000, v13
	v_lshrrev_b32_e32 v35, v23, v29
	v_lshlrev_b32_e32 v21, v21, v34
	v_lshl_or_b32 v30, v24, 12, v11
	v_cndmask_b32_e64 v11, 0, 1, vcc
	v_lshrrev_b32_e32 v36, v25, v33
	v_lshlrev_b32_e32 v23, v23, v35
	v_cmp_ne_u32_e32 vcc, v21, v27
	v_lshlrev_b32_e32 v25, v25, v36
	v_cndmask_b32_e64 v21, 0, 1, vcc
	v_cmp_ne_u32_e32 vcc, v23, v29
	v_cndmask_b32_e64 v23, 0, 1, vcc
	v_cmp_ne_u32_e32 vcc, v25, v33
	v_cndmask_b32_e64 v25, 0, 1, vcc
	v_or_b32_e32 v21, v34, v21
	v_cmp_gt_i32_e32 vcc, 1, v22
	v_cndmask_b32_e32 v21, v28, v21, vcc
	v_or_b32_e32 v23, v35, v23
	v_cmp_gt_i32_e32 vcc, 1, v24
	v_and_b32_e32 v27, 7, v21
	v_cndmask_b32_e32 v23, v30, v23, vcc
	v_cmp_lt_i32_e32 vcc, 5, v27
	v_cmp_eq_u32_e64 s[0:1], 3, v27
	v_lshrrev_b32_e32 v21, 2, v21
	v_and_b32_e32 v28, 7, v23
	s_or_b64 vcc, s[0:1], vcc
	v_cmp_lt_i32_e64 s[2:3], 5, v28
	v_cmp_eq_u32_e64 s[4:5], 3, v28
	v_addc_co_u32_e32 v21, vcc, 0, v21, vcc
	v_lshrrev_b32_e32 v23, 2, v23
	s_or_b64 vcc, s[4:5], s[2:3]
	v_addc_co_u32_e32 v23, vcc, 0, v23, vcc
	v_cmp_gt_i32_e32 vcc, 31, v22
	v_cndmask_b32_e32 v21, v6, v21, vcc
	v_cmp_gt_i32_e32 vcc, 31, v24
	v_lshl_or_b32 v9, v9, 9, v6
	v_cndmask_b32_e32 v23, v6, v23, vcc
	v_cmp_eq_u32_e32 vcc, s14, v22
	v_lshrrev_b32_e32 v10, 16, v10
	v_lshl_or_b32 v11, v11, 9, v6
	v_cndmask_b32_e32 v9, v21, v9, vcc
	v_cmp_eq_u32_e32 vcc, s14, v24
	v_lshrrev_b32_e32 v12, 16, v12
	v_cndmask_b32_e32 v11, v23, v11, vcc
	v_and_or_b32 v9, v10, s15, v9
	v_and_or_b32 v10, v12, s15, v11
	v_and_b32_e32 v9, 0xffff, v9
	v_lshl_or_b32 v9, v10, 16, v9
	v_add_u32_e32 v11, 0xfffffc10, v26
	v_or_b32_e32 v25, v36, v25
	global_store_dword v[4:5], v9, off
	v_lshl_or_b32 v9, v11, 12, v13
	v_cmp_gt_i32_e32 vcc, 1, v11
	v_cndmask_b32_e32 v9, v9, v25, vcc
	v_and_b32_e32 v10, 7, v9
	v_cmp_lt_i32_e32 vcc, 5, v10
	v_cmp_eq_u32_e64 s[0:1], 3, v10
	v_lshrrev_b32_e32 v12, 2, v9
	v_cvt_f64_f32_e32 v[9:10], v2
	s_or_b64 vcc, s[0:1], vcc
	v_addc_co_u32_e32 v2, vcc, 0, v12, vcc
	v_mul_f64 v[9:10], v[9:10], s[12:13]
	v_cmp_gt_i32_e32 vcc, 31, v11
	v_cndmask_b32_e32 v2, v6, v2, vcc
	v_cmp_ne_u32_e32 vcc, 0, v13
	v_cndmask_b32_e64 v12, 0, 1, vcc
	v_lshl_or_b32 v12, v12, 9, v6
	v_cmp_eq_u32_e32 vcc, s14, v11
	v_cndmask_b32_e32 v2, v2, v12, vcc
	v_lshrrev_b32_e32 v11, 16, v14
	v_and_or_b32 v14, v11, s15, v2
	v_and_or_b32 v2, v10, s10, v9
	v_cmp_ne_u32_e32 vcc, 0, v2
	v_cndmask_b32_e64 v2, 0, 1, vcc
	v_lshrrev_b32_e32 v9, 8, v10
	v_bfe_u32 v11, v10, 20, 11
	v_and_or_b32 v2, v9, s11, v2
	v_sub_u32_e32 v12, 0x3f1, v11
	v_or_b32_e32 v9, 0x1000, v2
	v_med3_i32 v12, v12, 0, 13
	v_lshrrev_b32_e32 v13, v12, v9
	v_lshlrev_b32_e32 v12, v12, v13
	v_cmp_ne_u32_e32 vcc, v12, v9
	v_cndmask_b32_e64 v9, 0, 1, vcc
	v_or_b32_e32 v9, v13, v9
	v_add_u32_e32 v13, 0xfffffc10, v11
	v_lshl_or_b32 v11, v13, 12, v2
	v_cmp_gt_i32_e32 vcc, 1, v13
	v_cndmask_b32_e32 v9, v11, v9, vcc
	v_and_b32_e32 v11, 7, v9
	v_cmp_lt_i32_e32 vcc, 5, v11
	v_cmp_eq_u32_e64 s[0:1], 3, v11
	v_lshrrev_b32_e32 v9, 2, v9
	s_or_b64 vcc, s[0:1], vcc
	v_addc_co_u32_e32 v9, vcc, 0, v9, vcc
	v_cmp_gt_i32_e32 vcc, 31, v13
	v_cndmask_b32_e32 v9, v6, v9, vcc
	v_cmp_ne_u32_e32 vcc, 0, v2
	v_cndmask_b32_e64 v2, 0, 1, vcc
	v_lshl_or_b32 v2, v2, 9, v6
	v_cmp_eq_u32_e32 vcc, s14, v13
	v_cndmask_b32_e32 v15, v9, v2, vcc
	s_waitcnt vmcnt(4)
	v_mul_f16_sdwa v9, v20, v16 dst_sel:DWORD dst_unused:UNUSED_PAD src0_sel:DWORD src1_sel:WORD_1
	v_mad_u64_u32 v[11:12], s[0:1], s8, v32, 0
	v_fma_f16 v9, v3, v16, v9
	v_cvt_f32_f16_e32 v9, v9
	v_mov_b32_e32 v2, v12
	v_mad_u64_u32 v[12:13], s[0:1], s9, v32, v[2:3]
	v_lshrrev_b32_e32 v2, 16, v10
	v_cvt_f64_f32_e32 v[9:10], v9
	v_lshlrev_b64 v[11:12], 2, v[11:12]
	v_and_or_b32 v2, v2, s15, v15
	v_and_b32_e32 v13, 0xffff, v14
	v_mul_f64 v[9:10], v[9:10], s[12:13]
	v_add_co_u32_e32 v7, vcc, v7, v11
	v_lshl_or_b32 v2, v2, 16, v13
	v_addc_co_u32_e32 v8, vcc, v8, v12, vcc
	global_store_dword v[7:8], v2, off
	v_mul_f16_sdwa v3, v3, v16 dst_sel:DWORD dst_unused:UNUSED_PAD src0_sel:DWORD src1_sel:WORD_1
	v_and_or_b32 v2, v10, s10, v9
	v_cmp_ne_u32_e32 vcc, 0, v2
	v_cndmask_b32_e64 v2, 0, 1, vcc
	v_lshrrev_b32_e32 v7, 8, v10
	v_bfe_u32 v8, v10, 20, 11
	v_and_or_b32 v7, v7, s11, v2
	v_sub_u32_e32 v9, 0x3f1, v8
	v_or_b32_e32 v2, 0x1000, v7
	v_med3_i32 v9, v9, 0, 13
	v_lshrrev_b32_e32 v11, v9, v2
	v_lshlrev_b32_e32 v9, v9, v11
	v_cmp_ne_u32_e32 vcc, v9, v2
	v_fma_f16 v3, v16, v20, -v3
	v_cndmask_b32_e64 v2, 0, 1, vcc
	v_add_u32_e32 v8, 0xfffffc10, v8
	v_cvt_f32_f16_e32 v3, v3
	v_or_b32_e32 v2, v11, v2
	v_lshl_or_b32 v9, v8, 12, v7
	v_cmp_gt_i32_e32 vcc, 1, v8
	v_cndmask_b32_e32 v2, v9, v2, vcc
	v_and_b32_e32 v9, 7, v2
	v_cmp_lt_i32_e32 vcc, 5, v9
	v_cmp_eq_u32_e64 s[0:1], 3, v9
	v_lshrrev_b32_e32 v9, 2, v2
	v_cvt_f64_f32_e32 v[2:3], v3
	s_or_b64 vcc, s[0:1], vcc
	v_addc_co_u32_e32 v9, vcc, 0, v9, vcc
	v_mul_f64 v[2:3], v[2:3], s[12:13]
	v_cmp_gt_i32_e32 vcc, 31, v8
	v_cndmask_b32_e32 v9, v6, v9, vcc
	v_cmp_ne_u32_e32 vcc, 0, v7
	v_cndmask_b32_e64 v7, 0, 1, vcc
	v_lshl_or_b32 v7, v7, 9, v6
	v_cmp_eq_u32_e32 vcc, s14, v8
	v_cndmask_b32_e32 v7, v9, v7, vcc
	v_and_or_b32 v2, v3, s10, v2
	v_lshrrev_b32_e32 v8, 16, v10
	v_cmp_ne_u32_e32 vcc, 0, v2
	v_and_or_b32 v11, v8, s15, v7
	v_cndmask_b32_e64 v2, 0, 1, vcc
	v_lshrrev_b32_e32 v7, 8, v3
	v_bfe_u32 v8, v3, 20, 11
	v_and_or_b32 v2, v7, s11, v2
	v_sub_u32_e32 v9, 0x3f1, v8
	v_or_b32_e32 v7, 0x1000, v2
	v_med3_i32 v9, v9, 0, 13
	v_lshrrev_b32_e32 v10, v9, v7
	v_lshlrev_b32_e32 v9, v9, v10
	v_cmp_ne_u32_e32 vcc, v9, v7
	v_cndmask_b32_e64 v7, 0, 1, vcc
	v_add_u32_e32 v9, 0xfffffc10, v8
	v_or_b32_e32 v7, v10, v7
	v_lshl_or_b32 v8, v9, 12, v2
	v_cmp_gt_i32_e32 vcc, 1, v9
	v_cndmask_b32_e32 v7, v8, v7, vcc
	v_and_b32_e32 v8, 7, v7
	v_cmp_lt_i32_e32 vcc, 5, v8
	v_cmp_eq_u32_e64 s[0:1], 3, v8
	v_lshrrev_b32_e32 v7, 2, v7
	s_or_b64 vcc, s[0:1], vcc
	v_addc_co_u32_e32 v10, vcc, 0, v7, vcc
	ds_read2_b32 v[7:8], v31 offset0:102 offset1:129
	v_cmp_gt_i32_e32 vcc, 31, v9
	v_cndmask_b32_e32 v10, v6, v10, vcc
	v_cmp_ne_u32_e32 vcc, 0, v2
	v_cndmask_b32_e64 v2, 0, 1, vcc
	s_waitcnt lgkmcnt(0)
	v_lshrrev_b32_e32 v12, 16, v7
	s_waitcnt vmcnt(4)
	v_mul_f16_sdwa v13, v12, v17 dst_sel:DWORD dst_unused:UNUSED_PAD src0_sel:DWORD src1_sel:WORD_1
	v_fma_f16 v13, v7, v17, v13
	v_cvt_f32_f16_e32 v13, v13
	v_lshl_or_b32 v2, v2, 9, v6
	v_cmp_eq_u32_e32 vcc, s14, v9
	v_cndmask_b32_e32 v2, v10, v2, vcc
	v_cvt_f64_f32_e32 v[9:10], v13
	v_lshrrev_b32_e32 v3, 16, v3
	v_and_or_b32 v13, v3, s15, v2
	v_mov_b32_e32 v14, 0xd8
	v_mul_f64 v[2:3], v[9:10], s[12:13]
	v_mad_u64_u32 v[4:5], s[0:1], s8, v14, v[4:5]
	v_and_b32_e32 v9, 0xffff, v11
	s_mul_i32 s0, s9, 0xd8
	v_lshl_or_b32 v9, v13, 16, v9
	v_add_u32_e32 v5, s0, v5
	global_store_dword v[4:5], v9, off
	v_and_or_b32 v2, v3, s10, v2
	v_cmp_ne_u32_e32 vcc, 0, v2
	v_cndmask_b32_e64 v2, 0, 1, vcc
	v_lshrrev_b32_e32 v9, 8, v3
	v_bfe_u32 v10, v3, 20, 11
	v_and_or_b32 v2, v9, s11, v2
	v_sub_u32_e32 v11, 0x3f1, v10
	v_or_b32_e32 v9, 0x1000, v2
	v_med3_i32 v11, v11, 0, 13
	v_lshrrev_b32_e32 v13, v11, v9
	v_lshlrev_b32_e32 v11, v11, v13
	v_mul_f16_sdwa v7, v7, v17 dst_sel:DWORD dst_unused:UNUSED_PAD src0_sel:DWORD src1_sel:WORD_1
	v_cmp_ne_u32_e32 vcc, v11, v9
	v_fma_f16 v7, v17, v12, -v7
	v_cndmask_b32_e64 v9, 0, 1, vcc
	v_add_u32_e32 v11, 0xfffffc10, v10
	v_cvt_f32_f16_e32 v7, v7
	v_or_b32_e32 v9, v13, v9
	v_lshl_or_b32 v10, v11, 12, v2
	v_cmp_gt_i32_e32 vcc, 1, v11
	v_cndmask_b32_e32 v9, v10, v9, vcc
	v_and_b32_e32 v10, 7, v9
	v_cmp_lt_i32_e32 vcc, 5, v10
	v_cmp_eq_u32_e64 s[0:1], 3, v10
	v_lshrrev_b32_e32 v12, 2, v9
	v_cvt_f64_f32_e32 v[9:10], v7
	s_or_b64 vcc, s[0:1], vcc
	v_addc_co_u32_e32 v7, vcc, 0, v12, vcc
	v_mul_f64 v[9:10], v[9:10], s[12:13]
	v_cmp_gt_i32_e32 vcc, 31, v11
	v_cndmask_b32_e32 v7, v6, v7, vcc
	v_cmp_ne_u32_e32 vcc, 0, v2
	v_cndmask_b32_e64 v2, 0, 1, vcc
	v_lshl_or_b32 v2, v2, 9, v6
	v_cmp_eq_u32_e32 vcc, s14, v11
	v_cndmask_b32_e32 v2, v7, v2, vcc
	v_lshrrev_b32_e32 v3, 16, v3
	v_and_or_b32 v7, v3, s15, v2
	v_and_or_b32 v2, v10, s10, v9
	v_cmp_ne_u32_e32 vcc, 0, v2
	v_cndmask_b32_e64 v2, 0, 1, vcc
	v_lshrrev_b32_e32 v3, 8, v10
	v_bfe_u32 v9, v10, 20, 11
	v_and_or_b32 v2, v3, s11, v2
	v_sub_u32_e32 v11, 0x3f1, v9
	v_or_b32_e32 v3, 0x1000, v2
	v_med3_i32 v11, v11, 0, 13
	v_lshrrev_b32_e32 v12, v11, v3
	v_lshlrev_b32_e32 v11, v11, v12
	v_cmp_ne_u32_e32 vcc, v11, v3
	v_cndmask_b32_e64 v3, 0, 1, vcc
	v_add_u32_e32 v9, 0xfffffc10, v9
	v_or_b32_e32 v3, v12, v3
	v_lshl_or_b32 v11, v9, 12, v2
	v_cmp_gt_i32_e32 vcc, 1, v9
	v_cndmask_b32_e32 v3, v11, v3, vcc
	v_and_b32_e32 v11, 7, v3
	v_cmp_lt_i32_e32 vcc, 5, v11
	v_cmp_eq_u32_e64 s[0:1], 3, v11
	v_lshrrev_b32_e32 v11, 16, v8
	v_lshrrev_b32_e32 v3, 2, v3
	s_or_b64 vcc, s[0:1], vcc
	s_waitcnt vmcnt(4)
	v_mul_f16_sdwa v12, v11, v18 dst_sel:DWORD dst_unused:UNUSED_PAD src0_sel:DWORD src1_sel:WORD_1
	v_addc_co_u32_e32 v3, vcc, 0, v3, vcc
	v_fma_f16 v12, v8, v18, v12
	v_cmp_gt_i32_e32 vcc, 31, v9
	v_cvt_f32_f16_e32 v12, v12
	v_cndmask_b32_e32 v3, v6, v3, vcc
	v_cmp_ne_u32_e32 vcc, 0, v2
	v_cndmask_b32_e64 v2, 0, 1, vcc
	v_lshl_or_b32 v2, v2, 9, v6
	v_cmp_eq_u32_e32 vcc, s14, v9
	v_cndmask_b32_e32 v9, v3, v2, vcc
	v_cvt_f64_f32_e32 v[2:3], v12
	v_lshrrev_b32_e32 v10, 16, v10
	v_mov_b32_e32 v12, s7
	v_add_co_u32_e32 v4, vcc, s6, v4
	v_mul_f64 v[2:3], v[2:3], s[12:13]
	v_and_or_b32 v9, v10, s15, v9
	v_and_b32_e32 v7, 0xffff, v7
	v_addc_co_u32_e32 v5, vcc, v5, v12, vcc
	v_lshl_or_b32 v7, v9, 16, v7
	global_store_dword v[4:5], v7, off
	v_mul_f16_sdwa v8, v8, v18 dst_sel:DWORD dst_unused:UNUSED_PAD src0_sel:DWORD src1_sel:WORD_1
	v_and_or_b32 v2, v3, s10, v2
	v_cmp_ne_u32_e32 vcc, 0, v2
	v_cndmask_b32_e64 v2, 0, 1, vcc
	v_lshrrev_b32_e32 v7, 8, v3
	v_bfe_u32 v9, v3, 20, 11
	v_and_or_b32 v2, v7, s11, v2
	v_sub_u32_e32 v10, 0x3f1, v9
	v_or_b32_e32 v7, 0x1000, v2
	v_med3_i32 v10, v10, 0, 13
	v_lshrrev_b32_e32 v13, v10, v7
	v_lshlrev_b32_e32 v10, v10, v13
	v_cmp_ne_u32_e32 vcc, v10, v7
	v_fma_f16 v8, v18, v11, -v8
	v_cndmask_b32_e64 v7, 0, 1, vcc
	v_add_u32_e32 v9, 0xfffffc10, v9
	v_cvt_f32_f16_e32 v8, v8
	v_or_b32_e32 v7, v13, v7
	v_lshl_or_b32 v10, v9, 12, v2
	v_cmp_gt_i32_e32 vcc, 1, v9
	v_cndmask_b32_e32 v7, v10, v7, vcc
	v_and_b32_e32 v10, 7, v7
	v_cmp_lt_i32_e32 vcc, 5, v10
	v_cmp_eq_u32_e64 s[0:1], 3, v10
	v_lshrrev_b32_e32 v10, 2, v7
	v_cvt_f64_f32_e32 v[7:8], v8
	s_or_b64 vcc, s[0:1], vcc
	v_addc_co_u32_e32 v10, vcc, 0, v10, vcc
	v_mul_f64 v[7:8], v[7:8], s[12:13]
	v_cmp_gt_i32_e32 vcc, 31, v9
	v_cndmask_b32_e32 v10, v6, v10, vcc
	v_cmp_ne_u32_e32 vcc, 0, v2
	v_cndmask_b32_e64 v2, 0, 1, vcc
	v_lshl_or_b32 v2, v2, 9, v6
	v_cmp_eq_u32_e32 vcc, s14, v9
	v_cndmask_b32_e32 v2, v10, v2, vcc
	v_lshrrev_b32_e32 v3, 16, v3
	v_and_or_b32 v11, v3, s15, v2
	v_and_or_b32 v2, v8, s10, v7
	v_cmp_ne_u32_e32 vcc, 0, v2
	v_cndmask_b32_e64 v2, 0, 1, vcc
	v_lshrrev_b32_e32 v3, 8, v8
	v_and_or_b32 v7, v3, s11, v2
	v_bfe_u32 v3, v8, 20, 11
	v_sub_u32_e32 v9, 0x3f1, v3
	v_or_b32_e32 v2, 0x1000, v7
	v_med3_i32 v9, v9, 0, 13
	v_lshrrev_b32_e32 v10, v9, v2
	v_lshlrev_b32_e32 v9, v9, v10
	v_cmp_ne_u32_e32 vcc, v9, v2
	v_cndmask_b32_e64 v2, 0, 1, vcc
	v_add_u32_e32 v13, 0xfffffc10, v3
	v_or_b32_e32 v2, v10, v2
	v_lshl_or_b32 v3, v13, 12, v7
	v_cmp_gt_i32_e32 vcc, 1, v13
	v_cndmask_b32_e32 v2, v3, v2, vcc
	v_and_b32_e32 v3, 7, v2
	v_cmp_lt_i32_e32 vcc, 5, v3
	v_cmp_eq_u32_e64 s[0:1], 3, v3
	v_lshrrev_b32_e32 v9, 2, v2
	ds_read2_b32 v[2:3], v31 offset0:156 offset1:183
	s_or_b64 vcc, s[0:1], vcc
	v_addc_co_u32_e32 v9, vcc, 0, v9, vcc
	v_cmp_gt_i32_e32 vcc, 31, v13
	s_waitcnt lgkmcnt(0)
	v_lshrrev_b32_e32 v15, 16, v2
	v_cndmask_b32_e32 v14, v6, v9, vcc
	s_waitcnt vmcnt(4)
	v_mul_f16_sdwa v9, v15, v19 dst_sel:DWORD dst_unused:UNUSED_PAD src0_sel:DWORD src1_sel:WORD_1
	v_fma_f16 v9, v2, v19, v9
	v_cvt_f32_f16_e32 v9, v9
	v_cmp_ne_u32_e32 vcc, 0, v7
	v_cndmask_b32_e64 v7, 0, 1, vcc
	v_lshl_or_b32 v7, v7, 9, v6
	v_cvt_f64_f32_e32 v[9:10], v9
	v_cmp_eq_u32_e32 vcc, s14, v13
	v_cndmask_b32_e32 v7, v14, v7, vcc
	v_lshrrev_b32_e32 v8, 16, v8
	v_and_or_b32 v13, v8, s15, v7
	v_mul_f64 v[7:8], v[9:10], s[12:13]
	v_add_co_u32_e32 v4, vcc, s6, v4
	v_and_b32_e32 v9, 0xffff, v11
	v_addc_co_u32_e32 v5, vcc, v5, v12, vcc
	v_lshl_or_b32 v9, v13, 16, v9
	global_store_dword v[4:5], v9, off
	v_and_or_b32 v7, v8, s10, v7
	v_cmp_ne_u32_e32 vcc, 0, v7
	v_cndmask_b32_e64 v7, 0, 1, vcc
	v_lshrrev_b32_e32 v9, 8, v8
	v_bfe_u32 v10, v8, 20, 11
	v_and_or_b32 v7, v9, s11, v7
	v_sub_u32_e32 v11, 0x3f1, v10
	v_or_b32_e32 v9, 0x1000, v7
	v_med3_i32 v11, v11, 0, 13
	v_lshrrev_b32_e32 v13, v11, v9
	v_lshlrev_b32_e32 v11, v11, v13
	v_mul_f16_sdwa v2, v2, v19 dst_sel:DWORD dst_unused:UNUSED_PAD src0_sel:DWORD src1_sel:WORD_1
	v_cmp_ne_u32_e32 vcc, v11, v9
	v_fma_f16 v2, v19, v15, -v2
	v_cndmask_b32_e64 v9, 0, 1, vcc
	v_add_u32_e32 v11, 0xfffffc10, v10
	v_cvt_f32_f16_e32 v2, v2
	v_or_b32_e32 v9, v13, v9
	v_lshl_or_b32 v10, v11, 12, v7
	v_cmp_gt_i32_e32 vcc, 1, v11
	v_cndmask_b32_e32 v9, v10, v9, vcc
	v_and_b32_e32 v10, 7, v9
	v_cmp_lt_i32_e32 vcc, 5, v10
	v_cmp_eq_u32_e64 s[0:1], 3, v10
	v_lshrrev_b32_e32 v13, 2, v9
	v_cvt_f64_f32_e32 v[9:10], v2
	s_or_b64 vcc, s[0:1], vcc
	v_addc_co_u32_e32 v2, vcc, 0, v13, vcc
	v_mul_f64 v[9:10], v[9:10], s[12:13]
	v_cmp_gt_i32_e32 vcc, 31, v11
	v_cndmask_b32_e32 v2, v6, v2, vcc
	v_cmp_ne_u32_e32 vcc, 0, v7
	v_cndmask_b32_e64 v7, 0, 1, vcc
	v_lshl_or_b32 v7, v7, 9, v6
	v_cmp_eq_u32_e32 vcc, s14, v11
	v_cndmask_b32_e32 v2, v2, v7, vcc
	v_lshrrev_b32_e32 v7, 16, v8
	v_and_or_b32 v2, v7, s15, v2
	v_and_or_b32 v7, v10, s10, v9
	v_cmp_ne_u32_e32 vcc, 0, v7
	v_cndmask_b32_e64 v7, 0, 1, vcc
	v_lshrrev_b32_e32 v8, 8, v10
	v_bfe_u32 v9, v10, 20, 11
	v_and_or_b32 v7, v8, s11, v7
	v_sub_u32_e32 v11, 0x3f1, v9
	v_or_b32_e32 v8, 0x1000, v7
	v_med3_i32 v11, v11, 0, 13
	v_lshrrev_b32_e32 v13, v11, v8
	v_lshlrev_b32_e32 v11, v11, v13
	v_cmp_ne_u32_e32 vcc, v11, v8
	v_cndmask_b32_e64 v8, 0, 1, vcc
	v_add_u32_e32 v9, 0xfffffc10, v9
	v_or_b32_e32 v8, v13, v8
	v_lshl_or_b32 v11, v9, 12, v7
	v_cmp_gt_i32_e32 vcc, 1, v9
	v_cndmask_b32_e32 v8, v11, v8, vcc
	v_and_b32_e32 v11, 7, v8
	v_cmp_lt_i32_e32 vcc, 5, v11
	v_cmp_eq_u32_e64 s[0:1], 3, v11
	v_lshrrev_b32_e32 v8, 2, v8
	s_or_b64 vcc, s[0:1], vcc
	v_addc_co_u32_e32 v8, vcc, 0, v8, vcc
	v_cmp_gt_i32_e32 vcc, 31, v9
	v_cndmask_b32_e32 v8, v6, v8, vcc
	v_cmp_ne_u32_e32 vcc, 0, v7
	v_cndmask_b32_e64 v7, 0, 1, vcc
	v_lshl_or_b32 v7, v7, 9, v6
	v_cmp_eq_u32_e32 vcc, s14, v9
	v_cndmask_b32_e32 v7, v8, v7, vcc
	v_lshrrev_b32_e32 v8, 16, v10
	v_and_or_b32 v7, v8, s15, v7
	v_and_b32_e32 v2, 0xffff, v2
	v_add_co_u32_e32 v4, vcc, s6, v4
	v_lshl_or_b32 v2, v7, 16, v2
	v_addc_co_u32_e32 v5, vcc, v5, v12, vcc
	global_store_dword v[4:5], v2, off
	global_load_dword v2, v[0:1], off offset:732
	v_lshrrev_b32_e32 v7, 16, v3
	s_waitcnt vmcnt(0)
	v_mul_f16_sdwa v0, v7, v2 dst_sel:DWORD dst_unused:UNUSED_PAD src0_sel:DWORD src1_sel:WORD_1
	v_fma_f16 v0, v3, v2, v0
	v_cvt_f32_f16_e32 v0, v0
	v_mul_f16_sdwa v3, v3, v2 dst_sel:DWORD dst_unused:UNUSED_PAD src0_sel:DWORD src1_sel:WORD_1
	v_fma_f16 v2, v2, v7, -v3
	v_cvt_f32_f16_e32 v2, v2
	v_cvt_f64_f32_e32 v[0:1], v0
	v_cvt_f64_f32_e32 v[2:3], v2
	v_mul_f64 v[0:1], v[0:1], s[12:13]
	v_mul_f64 v[2:3], v[2:3], s[12:13]
	v_and_or_b32 v0, v1, s10, v0
	v_cmp_ne_u32_e32 vcc, 0, v0
	v_cndmask_b32_e64 v0, 0, 1, vcc
	v_lshrrev_b32_e32 v8, 8, v1
	v_bfe_u32 v9, v1, 20, 11
	v_and_or_b32 v0, v8, s11, v0
	v_sub_u32_e32 v10, 0x3f1, v9
	v_or_b32_e32 v8, 0x1000, v0
	v_med3_i32 v10, v10, 0, 13
	v_lshrrev_b32_e32 v11, v10, v8
	v_lshlrev_b32_e32 v10, v10, v11
	v_cmp_ne_u32_e32 vcc, v10, v8
	v_cndmask_b32_e64 v8, 0, 1, vcc
	v_add_u32_e32 v9, 0xfffffc10, v9
	v_or_b32_e32 v8, v11, v8
	v_lshl_or_b32 v10, v9, 12, v0
	v_cmp_gt_i32_e32 vcc, 1, v9
	v_cndmask_b32_e32 v8, v10, v8, vcc
	v_and_b32_e32 v10, 7, v8
	v_cmp_lt_i32_e32 vcc, 5, v10
	v_cmp_eq_u32_e64 s[0:1], 3, v10
	v_lshrrev_b32_e32 v7, 2, v8
	s_or_b64 vcc, s[0:1], vcc
	v_addc_co_u32_e32 v7, vcc, 0, v7, vcc
	v_cmp_gt_i32_e32 vcc, 31, v9
	v_cndmask_b32_e32 v7, v6, v7, vcc
	v_cmp_ne_u32_e32 vcc, 0, v0
	v_cndmask_b32_e64 v0, 0, 1, vcc
	v_lshl_or_b32 v0, v0, 9, v6
	v_cmp_eq_u32_e32 vcc, s14, v9
	v_cndmask_b32_e32 v0, v7, v0, vcc
	v_lshrrev_b32_e32 v1, 16, v1
	v_and_or_b32 v0, v1, s15, v0
	v_and_or_b32 v1, v3, s10, v2
	v_cmp_ne_u32_e32 vcc, 0, v1
	v_cndmask_b32_e64 v1, 0, 1, vcc
	v_lshrrev_b32_e32 v2, 8, v3
	v_bfe_u32 v7, v3, 20, 11
	v_and_or_b32 v1, v2, s11, v1
	v_sub_u32_e32 v8, 0x3f1, v7
	v_or_b32_e32 v2, 0x1000, v1
	v_med3_i32 v8, v8, 0, 13
	v_lshrrev_b32_e32 v9, v8, v2
	v_lshlrev_b32_e32 v8, v8, v9
	v_cmp_ne_u32_e32 vcc, v8, v2
	v_cndmask_b32_e64 v2, 0, 1, vcc
	v_add_u32_e32 v7, 0xfffffc10, v7
	v_or_b32_e32 v2, v9, v2
	v_lshl_or_b32 v8, v7, 12, v1
	v_cmp_gt_i32_e32 vcc, 1, v7
	v_cndmask_b32_e32 v2, v8, v2, vcc
	v_and_b32_e32 v8, 7, v2
	v_cmp_lt_i32_e32 vcc, 5, v8
	v_cmp_eq_u32_e64 s[0:1], 3, v8
	v_lshrrev_b32_e32 v2, 2, v2
	s_or_b64 vcc, s[0:1], vcc
	v_addc_co_u32_e32 v2, vcc, 0, v2, vcc
	v_cmp_gt_i32_e32 vcc, 31, v7
	v_cndmask_b32_e32 v2, v6, v2, vcc
	v_cmp_ne_u32_e32 vcc, 0, v1
	v_cndmask_b32_e64 v1, 0, 1, vcc
	v_lshl_or_b32 v1, v1, 9, v6
	v_cmp_eq_u32_e32 vcc, s14, v7
	v_cndmask_b32_e32 v1, v2, v1, vcc
	v_lshrrev_b32_e32 v2, 16, v3
	v_and_or_b32 v1, v2, s15, v1
	v_and_b32_e32 v0, 0xffff, v0
	v_lshl_or_b32 v2, v1, 16, v0
	v_add_co_u32_e32 v0, vcc, s6, v4
	v_addc_co_u32_e32 v1, vcc, v5, v12, vcc
	global_store_dword v[0:1], v2, off
.LBB0_15:
	s_endpgm
	.section	.rodata,"a",@progbits
	.p2align	6, 0x0
	.amdhsa_kernel bluestein_single_fwd_len189_dim1_half_op_CI_CI
		.amdhsa_group_segment_fixed_size 2268
		.amdhsa_private_segment_fixed_size 0
		.amdhsa_kernarg_size 104
		.amdhsa_user_sgpr_count 6
		.amdhsa_user_sgpr_private_segment_buffer 1
		.amdhsa_user_sgpr_dispatch_ptr 0
		.amdhsa_user_sgpr_queue_ptr 0
		.amdhsa_user_sgpr_kernarg_segment_ptr 1
		.amdhsa_user_sgpr_dispatch_id 0
		.amdhsa_user_sgpr_flat_scratch_init 0
		.amdhsa_user_sgpr_private_segment_size 0
		.amdhsa_uses_dynamic_stack 0
		.amdhsa_system_sgpr_private_segment_wavefront_offset 0
		.amdhsa_system_sgpr_workgroup_id_x 1
		.amdhsa_system_sgpr_workgroup_id_y 0
		.amdhsa_system_sgpr_workgroup_id_z 0
		.amdhsa_system_sgpr_workgroup_info 0
		.amdhsa_system_vgpr_workitem_id 0
		.amdhsa_next_free_vgpr 61
		.amdhsa_next_free_sgpr 19
		.amdhsa_reserve_vcc 1
		.amdhsa_reserve_flat_scratch 0
		.amdhsa_float_round_mode_32 0
		.amdhsa_float_round_mode_16_64 0
		.amdhsa_float_denorm_mode_32 3
		.amdhsa_float_denorm_mode_16_64 3
		.amdhsa_dx10_clamp 1
		.amdhsa_ieee_mode 1
		.amdhsa_fp16_overflow 0
		.amdhsa_exception_fp_ieee_invalid_op 0
		.amdhsa_exception_fp_denorm_src 0
		.amdhsa_exception_fp_ieee_div_zero 0
		.amdhsa_exception_fp_ieee_overflow 0
		.amdhsa_exception_fp_ieee_underflow 0
		.amdhsa_exception_fp_ieee_inexact 0
		.amdhsa_exception_int_div_zero 0
	.end_amdhsa_kernel
	.text
.Lfunc_end0:
	.size	bluestein_single_fwd_len189_dim1_half_op_CI_CI, .Lfunc_end0-bluestein_single_fwd_len189_dim1_half_op_CI_CI
                                        ; -- End function
	.section	.AMDGPU.csdata,"",@progbits
; Kernel info:
; codeLenInByte = 16804
; NumSgprs: 23
; NumVgprs: 61
; ScratchSize: 0
; MemoryBound: 0
; FloatMode: 240
; IeeeMode: 1
; LDSByteSize: 2268 bytes/workgroup (compile time only)
; SGPRBlocks: 2
; VGPRBlocks: 15
; NumSGPRsForWavesPerEU: 23
; NumVGPRsForWavesPerEU: 61
; Occupancy: 4
; WaveLimiterHint : 1
; COMPUTE_PGM_RSRC2:SCRATCH_EN: 0
; COMPUTE_PGM_RSRC2:USER_SGPR: 6
; COMPUTE_PGM_RSRC2:TRAP_HANDLER: 0
; COMPUTE_PGM_RSRC2:TGID_X_EN: 1
; COMPUTE_PGM_RSRC2:TGID_Y_EN: 0
; COMPUTE_PGM_RSRC2:TGID_Z_EN: 0
; COMPUTE_PGM_RSRC2:TIDIG_COMP_CNT: 0
	.type	__hip_cuid_10bcba5bd6772a85,@object ; @__hip_cuid_10bcba5bd6772a85
	.section	.bss,"aw",@nobits
	.globl	__hip_cuid_10bcba5bd6772a85
__hip_cuid_10bcba5bd6772a85:
	.byte	0                               ; 0x0
	.size	__hip_cuid_10bcba5bd6772a85, 1

	.ident	"AMD clang version 19.0.0git (https://github.com/RadeonOpenCompute/llvm-project roc-6.4.0 25133 c7fe45cf4b819c5991fe208aaa96edf142730f1d)"
	.section	".note.GNU-stack","",@progbits
	.addrsig
	.addrsig_sym __hip_cuid_10bcba5bd6772a85
	.amdgpu_metadata
---
amdhsa.kernels:
  - .args:
      - .actual_access:  read_only
        .address_space:  global
        .offset:         0
        .size:           8
        .value_kind:     global_buffer
      - .actual_access:  read_only
        .address_space:  global
        .offset:         8
        .size:           8
        .value_kind:     global_buffer
      - .actual_access:  read_only
        .address_space:  global
        .offset:         16
        .size:           8
        .value_kind:     global_buffer
      - .actual_access:  read_only
        .address_space:  global
        .offset:         24
        .size:           8
        .value_kind:     global_buffer
      - .actual_access:  read_only
        .address_space:  global
        .offset:         32
        .size:           8
        .value_kind:     global_buffer
      - .offset:         40
        .size:           8
        .value_kind:     by_value
      - .address_space:  global
        .offset:         48
        .size:           8
        .value_kind:     global_buffer
      - .address_space:  global
        .offset:         56
        .size:           8
        .value_kind:     global_buffer
      - .address_space:  global
        .offset:         64
        .size:           8
        .value_kind:     global_buffer
      - .address_space:  global
        .offset:         72
        .size:           8
        .value_kind:     global_buffer
      - .offset:         80
        .size:           4
        .value_kind:     by_value
      - .address_space:  global
        .offset:         88
        .size:           8
        .value_kind:     global_buffer
      - .address_space:  global
        .offset:         96
        .size:           8
        .value_kind:     global_buffer
    .group_segment_fixed_size: 2268
    .kernarg_segment_align: 8
    .kernarg_segment_size: 104
    .language:       OpenCL C
    .language_version:
      - 2
      - 0
    .max_flat_workgroup_size: 63
    .name:           bluestein_single_fwd_len189_dim1_half_op_CI_CI
    .private_segment_fixed_size: 0
    .sgpr_count:     23
    .sgpr_spill_count: 0
    .symbol:         bluestein_single_fwd_len189_dim1_half_op_CI_CI.kd
    .uniform_work_group_size: 1
    .uses_dynamic_stack: false
    .vgpr_count:     61
    .vgpr_spill_count: 0
    .wavefront_size: 64
amdhsa.target:   amdgcn-amd-amdhsa--gfx906
amdhsa.version:
  - 1
  - 2
...

	.end_amdgpu_metadata
